;; amdgpu-corpus repo=triton-lang/triton kind=triton arch=gfx1201 opt=O3 lang=triton
	.amdgcn_target "amdgcn-amd-amdhsa--gfx1201"
	.amdhsa_code_object_version 5
	.text
	.globl	_layer_norm_bwd_dwdb            ; -- Begin function _layer_norm_bwd_dwdb
	.p2align	8
	.type	_layer_norm_bwd_dwdb,@function
_layer_norm_bwd_dwdb:                   ; @_layer_norm_bwd_dwdb
.Lfunc_begin0:
	.file	1 "/root/src/amdgpu-assembly/repos/triton-lang__triton-aot" "layer_norm_bwd.py"
	.loc	1 73 0                          ; layer_norm_bwd.py:73:0
	.cfi_sections .debug_frame
	.cfi_startproc
; %bb.0:
	s_clause 0x1
	s_load_b64 s[2:3], s[0:1], 0x20
	s_load_b128 s[4:7], s[0:1], 0x10
.Ltmp0:
	.loc	1 82 45 prologue_end            ; layer_norm_bwd.py:82:45
	s_bfe_u32 s8, ttmp8, 0x50019
	v_and_b32_e32 v0, 31, v0
	s_lshl_b32 s8, s8, 5
	.loc	1 82 17 is_stmt 0               ; layer_norm_bwd.py:82:17
	s_lshl_b32 s39, ttmp9, 8
	.loc	1 82 45                         ; layer_norm_bwd.py:82:45
	s_and_b32 s40, s8, 0xe0
	s_delay_alu instid0(VALU_DEP_1) | instid1(SALU_CYCLE_1)
	.loc	1 82 32                         ; layer_norm_bwd.py:82:32
	v_or3_b32 v2, v0, s40, s39
	.loc	1 86 25 is_stmt 1               ; layer_norm_bwd.py:86:25
	s_wait_kmcnt 0x0
	s_cmp_lt_i32 s2, 1
	s_delay_alu instid0(VALU_DEP_1)
	.loc	1 88 54                         ; layer_norm_bwd.py:88:54
	v_cmp_gt_i32_e32 vcc_lo, s3, v2
	.loc	1 86 25                         ; layer_norm_bwd.py:86:25
	s_cbranch_scc1 .LBB0_262
; %bb.1:                                ; %.lr.ph.preheader
	.loc	1 90 22                         ; layer_norm_bwd.py:90:22
	v_add3_u32 v1, s39, s40, v0
	v_dual_mov_b32 v0, 0 :: v_dual_mov_b32 v255, 0
	s_load_b128 s[8:11], s[0:1], 0x0
	v_dual_mov_b32 v190, 0 :: v_dual_mov_b32 v191, 0
	scratch_store_b32 off, v0, off offset:220 ; 4-byte Folded Spill
	v_dual_mov_b32 v0, 0 :: v_dual_mov_b32 v253, 0
	v_dual_mov_b32 v192, 0 :: v_dual_mov_b32 v189, 0
	v_mov_b32_e32 v251, 0
	scratch_store_b32 off, v0, off offset:216 ; 4-byte Folded Spill
	v_mov_b32_e32 v0, 0
	v_dual_mov_b32 v188, 0 :: v_dual_mov_b32 v187, 0
	v_dual_mov_b32 v186, 0 :: v_dual_mov_b32 v185, 0
	scratch_store_b32 off, v0, off offset:212 ; 4-byte Folded Spill
	v_dual_mov_b32 v0, 0 :: v_dual_mov_b32 v249, 0
	scratch_store_b64 off, v[2:3], off offset:272 ; 8-byte Folded Spill
	v_dual_mov_b32 v184, 0 :: v_dual_mov_b32 v183, 0
	v_dual_mov_b32 v182, 0 :: v_dual_mov_b32 v181, 0
	v_dual_mov_b32 v180, 0 :: v_dual_mov_b32 v179, 0
	v_dual_mov_b32 v178, 0 :: v_dual_mov_b32 v177, 0
	v_dual_mov_b32 v176, 0 :: v_dual_mov_b32 v175, 0
	v_dual_mov_b32 v174, 0 :: v_dual_mov_b32 v173, 0
	v_dual_mov_b32 v172, 0 :: v_dual_mov_b32 v171, 0
	v_dual_mov_b32 v170, 0 :: v_dual_mov_b32 v169, 0
	v_dual_mov_b32 v168, 0 :: v_dual_mov_b32 v167, 0
	v_dual_mov_b32 v166, 0 :: v_dual_mov_b32 v165, 0
	v_dual_mov_b32 v164, 0 :: v_dual_mov_b32 v163, 0
	v_dual_mov_b32 v162, 0 :: v_dual_mov_b32 v161, 0
	v_dual_mov_b32 v160, 0 :: v_dual_mov_b32 v159, 0
	v_dual_mov_b32 v158, 0 :: v_dual_mov_b32 v157, 0
	v_dual_mov_b32 v156, 0 :: v_dual_mov_b32 v155, 0
	v_dual_mov_b32 v154, 0 :: v_dual_mov_b32 v153, 0
	v_dual_mov_b32 v152, 0 :: v_dual_mov_b32 v151, 0
	v_dual_mov_b32 v150, 0 :: v_dual_mov_b32 v149, 0
	v_dual_mov_b32 v148, 0 :: v_dual_mov_b32 v147, 0
	v_dual_mov_b32 v146, 0 :: v_dual_mov_b32 v145, 0
	v_dual_mov_b32 v144, 0 :: v_dual_mov_b32 v143, 0
	v_dual_mov_b32 v142, 0 :: v_dual_mov_b32 v141, 0
	v_dual_mov_b32 v140, 0 :: v_dual_mov_b32 v139, 0
	v_dual_mov_b32 v138, 0 :: v_dual_mov_b32 v137, 0
	v_dual_mov_b32 v136, 0 :: v_dual_mov_b32 v135, 0
	v_dual_mov_b32 v134, 0 :: v_dual_mov_b32 v133, 0
	scratch_store_b32 off, v0, off offset:208 ; 4-byte Folded Spill
	v_dual_mov_b32 v0, 0 :: v_dual_mov_b32 v247, 0
	v_dual_mov_b32 v254, 0 :: v_dual_mov_b32 v245, 0
	v_dual_mov_b32 v252, 0 :: v_dual_mov_b32 v243, 0
	v_dual_mov_b32 v250, 0 :: v_dual_mov_b32 v241, 0
	v_dual_mov_b32 v248, 0 :: v_dual_mov_b32 v239, 0
	v_dual_mov_b32 v246, 0 :: v_dual_mov_b32 v237, 0
	v_dual_mov_b32 v244, 0 :: v_dual_mov_b32 v235, 0
	v_dual_mov_b32 v242, 0 :: v_dual_mov_b32 v233, 0
	v_dual_mov_b32 v240, 0 :: v_dual_mov_b32 v231, 0
	v_dual_mov_b32 v238, 0 :: v_dual_mov_b32 v229, 0
	v_dual_mov_b32 v236, 0 :: v_dual_mov_b32 v227, 0
	v_dual_mov_b32 v234, 0 :: v_dual_mov_b32 v225, 0
	v_dual_mov_b32 v232, 0 :: v_dual_mov_b32 v223, 0
	v_dual_mov_b32 v230, 0 :: v_dual_mov_b32 v221, 0
	v_dual_mov_b32 v228, 0 :: v_dual_mov_b32 v219, 0
	v_dual_mov_b32 v226, 0 :: v_dual_mov_b32 v217, 0
	v_dual_mov_b32 v224, 0 :: v_dual_mov_b32 v215, 0
	v_dual_mov_b32 v222, 0 :: v_dual_mov_b32 v213, 0
	v_dual_mov_b32 v220, 0 :: v_dual_mov_b32 v211, 0
	v_dual_mov_b32 v218, 0 :: v_dual_mov_b32 v209, 0
	v_dual_mov_b32 v216, 0 :: v_dual_mov_b32 v207, 0
	v_dual_mov_b32 v214, 0 :: v_dual_mov_b32 v205, 0
	v_dual_mov_b32 v212, 0 :: v_dual_mov_b32 v203, 0
	v_dual_mov_b32 v210, 0 :: v_dual_mov_b32 v201, 0
	v_dual_mov_b32 v208, 0 :: v_dual_mov_b32 v199, 0
	v_dual_mov_b32 v206, 0 :: v_dual_mov_b32 v197, 0
	v_dual_mov_b32 v204, 0 :: v_dual_mov_b32 v195, 0
	v_dual_mov_b32 v202, 0 :: v_dual_mov_b32 v193, 0
	v_mov_b32_e32 v200, 0
	v_mov_b32_e32 v198, 0
	;; [unrolled: 1-line block ×4, first 2 shown]
	s_lshl_b32 s1, s3, 1
	s_lshl_b32 s12, s3, 2
	;; [unrolled: 1-line block ×5, first 2 shown]
	s_mul_i32 s16, s3, 41
	s_mul_i32 s17, s3, 42
	;; [unrolled: 1-line block ×23, first 2 shown]
	s_lshl_b32 s40, s3, 6
	s_mov_b32 s41, 0
	s_branch .LBB0_3
.LBB0_2:                                ;   in Loop: Header=BB0_3 Depth=1
	.loc	1 0 22 is_stmt 0                ; layer_norm_bwd.py:0:22
	s_or_b32 exec_lo, exec_lo, s42
	.loc	1 91 14 is_stmt 1               ; layer_norm_bwd.py:91:14
	s_wait_loadcnt 0x0
	v_dual_add_f32 v191, v191, v2 :: v_dual_add_f32 v142, v142, v59
	s_clause 0x1                            ; 8-byte Folded Reload
	scratch_load_b32 v2, off, off offset:220
	scratch_load_b32 v74, off, off th:TH_LOAD_LU
	v_add_f32_e32 v165, v165, v38
	.loc	1 90 14                         ; layer_norm_bwd.py:90:14
	v_dual_add_f32 v205, v205, v6 :: v_dual_add_f32 v148, v148, v53
	scratch_load_b32 v6, off, off offset:204 th:TH_LOAD_LU ; 4-byte Folded Reload
	v_dual_add_f32 v201, v201, v10 :: v_dual_add_f32 v146, v146, v55
	v_dual_add_f32 v195, v195, v14 :: v_dual_add_f32 v144, v144, v57
	.loc	1 91 14                         ; layer_norm_bwd.py:91:14
	v_add_f32_e32 v188, v188, v18
	v_add_f32_e32 v184, v184, v22
	v_dual_add_f32 v183, v183, v130 :: v_dual_add_f32 v140, v140, v61
	v_dual_add_f32 v177, v177, v26 :: v_dual_add_f32 v138, v138, v63
	;; [unrolled: 1-line block ×4, first 2 shown]
	v_add_f32_e32 v149, v149, v54
	v_add_f32_e32 v145, v145, v58
	;; [unrolled: 1-line block ×5, first 2 shown]
	.loc	1 86 25                         ; layer_norm_bwd.py:86:25
	s_add_co_i32 s41, s41, 64
	.loc	1 90 14                         ; layer_norm_bwd.py:90:14
	v_add_f32_e32 v202, v202, v7
	.loc	1 86 25                         ; layer_norm_bwd.py:86:25
	s_wait_alu depctr_sa_sdst(0)
	s_cmp_lt_i32 s41, s2
	.loc	1 90 14                         ; layer_norm_bwd.py:90:14
	v_add_f32_e32 v203, v203, v8
	v_dual_add_f32 v199, v199, v12 :: v_dual_add_f32 v200, v200, v9
	v_dual_add_f32 v197, v197, v4 :: v_dual_add_f32 v198, v198, v11
	v_add_f32_e32 v193, v193, v15
	v_add_f32_e32 v196, v196, v3
	.loc	1 91 14                         ; layer_norm_bwd.py:91:14
	v_dual_add_f32 v189, v189, v19 :: v_dual_add_f32 v194, v194, v13
	v_dual_add_f32 v187, v187, v21 :: v_dual_add_f32 v190, v190, v16
	v_add_f32_e32 v185, v185, v5
	v_dual_add_f32 v192, v192, v17 :: v_dual_add_f32 v181, v181, v132
	v_add_f32_e32 v186, v186, v20
	v_dual_add_f32 v179, v179, v24 :: v_dual_add_f32 v182, v182, v129
	v_dual_add_f32 v175, v175, v28 :: v_dual_add_f32 v180, v180, v131
	v_dual_add_f32 v171, v171, v32 :: v_dual_add_f32 v178, v178, v23
	v_dual_add_f32 v167, v167, v36 :: v_dual_add_f32 v176, v176, v25
	v_dual_add_f32 v163, v163, v40 :: v_dual_add_f32 v174, v174, v27
	v_dual_add_f32 v159, v159, v44 :: v_dual_add_f32 v172, v172, v29
	v_dual_add_f32 v155, v155, v48 :: v_dual_add_f32 v170, v170, v31
	v_dual_add_f32 v151, v151, v52 :: v_dual_add_f32 v168, v168, v33
	v_dual_add_f32 v147, v147, v56 :: v_dual_add_f32 v166, v166, v35
	v_dual_add_f32 v143, v143, v60 :: v_dual_add_f32 v164, v164, v37
	v_dual_add_f32 v139, v139, v64 :: v_dual_add_f32 v162, v162, v39
	v_dual_add_f32 v135, v135, v68 :: v_dual_add_f32 v160, v160, v41
	v_dual_add_f32 v158, v158, v43 :: v_dual_add_nc_u32 v1, s40, v1
	v_add_f32_e32 v156, v156, v45
	v_add_f32_e32 v154, v154, v47
	;; [unrolled: 1-line block ×4, first 2 shown]
	s_wait_loadcnt 0x2
	v_add_f32_e32 v2, v2, v69
	scratch_store_b32 off, v2, off offset:220 ; 4-byte Folded Spill
	scratch_load_b32 v2, off, off offset:216 ; 4-byte Folded Reload
	.loc	1 90 14                         ; layer_norm_bwd.py:90:14
	s_wait_loadcnt 0x2
	v_add_f32_e32 v255, v255, v74
	scratch_load_b32 v74, off, off offset:8 th:TH_LOAD_LU ; 4-byte Folded Reload
	.loc	1 91 14                         ; layer_norm_bwd.py:91:14
	v_add_f32_e32 v161, v161, v42
	.loc	1 90 14                         ; layer_norm_bwd.py:90:14
	s_wait_loadcnt 0x2
	v_add_f32_e32 v204, v204, v6
	.loc	1 91 14                         ; layer_norm_bwd.py:91:14
	s_wait_loadcnt 0x1
	v_add_f32_e32 v2, v2, v72
	scratch_store_b32 off, v2, off offset:216 ; 4-byte Folded Spill
	scratch_load_b32 v2, off, off offset:212 ; 4-byte Folded Reload
	.loc	1 90 14                         ; layer_norm_bwd.py:90:14
	s_wait_loadcnt 0x1
	v_add_f32_e32 v0, v0, v74
	scratch_load_b32 v74, off, off offset:4 th:TH_LOAD_LU ; 4-byte Folded Reload
	.loc	1 91 14                         ; layer_norm_bwd.py:91:14
	s_wait_loadcnt 0x1
	v_dual_add_f32 v157, v157, v46 :: v_dual_add_f32 v2, v2, v71
	scratch_store_b32 off, v2, off offset:212 ; 4-byte Folded Spill
	scratch_load_b32 v2, off, off offset:208 ; 4-byte Folded Reload
	.loc	1 90 14                         ; layer_norm_bwd.py:90:14
	s_wait_loadcnt 0x1
	v_add_f32_e32 v254, v254, v74
	scratch_load_b32 v74, off, off offset:16 th:TH_LOAD_LU ; 4-byte Folded Reload
	.loc	1 91 14                         ; layer_norm_bwd.py:91:14
	s_wait_loadcnt 0x1
	v_dual_add_f32 v153, v153, v50 :: v_dual_add_f32 v2, v2, v73
	.loc	1 90 14                         ; layer_norm_bwd.py:90:14
	s_wait_loadcnt 0x0
	v_add_f32_e32 v253, v253, v74
	scratch_load_b32 v74, off, off offset:12 th:TH_LOAD_LU ; 4-byte Folded Reload
	.loc	1 86 25                         ; layer_norm_bwd.py:86:25
	scratch_store_b32 off, v2, off offset:208 ; 4-byte Folded Spill
	.loc	1 90 14                         ; layer_norm_bwd.py:90:14
	s_wait_loadcnt 0x0
	v_add_f32_e32 v252, v252, v74
	scratch_load_b32 v74, off, off offset:24 th:TH_LOAD_LU ; 4-byte Folded Reload
	s_wait_loadcnt 0x0
	v_add_f32_e32 v251, v251, v74
	scratch_load_b32 v74, off, off offset:20 th:TH_LOAD_LU ; 4-byte Folded Reload
	;; [unrolled: 3-line block ×46, first 2 shown]
	s_wait_loadcnt 0x0
	v_add_f32_e32 v206, v206, v74
	.loc	1 86 25                         ; layer_norm_bwd.py:86:25
	s_cbranch_scc0 .LBB0_259
.LBB0_3:                                ; %.lr.ph
                                        ; =>This Inner Loop Header: Depth=1
	.loc	1 0 25 is_stmt 0                ; layer_norm_bwd.py:0:25
	v_ashrrev_i32_e32 v2, 31, v1
	v_mov_b32_e32 v3, 0
	.loc	1 90 22 is_stmt 1               ; layer_norm_bwd.py:90:22
	scratch_store_b32 off, v3, off          ; 4-byte Folded Spill
	s_and_saveexec_b32 s42, vcc_lo
	s_cbranch_execz .LBB0_5
; %bb.4:                                ;   in Loop: Header=BB0_3 Depth=1
	.loc	1 0 22 is_stmt 0                ; layer_norm_bwd.py:0:22
	v_lshlrev_b64_e32 v[3:4], 2, v[1:2]
	s_wait_kmcnt 0x0
	s_delay_alu instid0(VALU_DEP_1) | instskip(SKIP_1) | instid1(VALU_DEP_2)
	v_add_co_u32 v3, s0, s8, v3
	s_wait_alu depctr_va_sdst(0)
	v_add_co_ci_u32_e64 v4, null, s9, v4, s0
	.loc	1 90 22                         ; layer_norm_bwd.py:90:22
	global_load_b32 v3, v[3:4], off
	s_wait_loadcnt 0x0
	scratch_store_b32 off, v3, off          ; 4-byte Folded Spill
.LBB0_5:                                ;   in Loop: Header=BB0_3 Depth=1
	.loc	1 0 22                          ; layer_norm_bwd.py:0:22
	s_or_b32 exec_lo, exec_lo, s42
	v_add_nc_u32_e32 v3, s3, v1
	.loc	1 87 19 is_stmt 1               ; layer_norm_bwd.py:87:19
	s_wait_alu depctr_sa_sdst(0)
	s_add_co_i32 s0, s41, 1
	v_mov_b32_e32 v5, 0
	.loc	1 88 32                         ; layer_norm_bwd.py:88:32
	s_wait_alu depctr_sa_sdst(0)
	s_cmp_lt_i32 s0, s2
	s_cselect_b32 s0, -1, 0
	.loc	1 90 27                         ; layer_norm_bwd.py:90:27
	v_ashrrev_i32_e32 v4, 31, v3
	.loc	1 88 38                         ; layer_norm_bwd.py:88:38
	s_wait_alu depctr_sa_sdst(0)
	s_and_b32 s42, vcc_lo, s0
	s_delay_alu instid0(VALU_DEP_1)
	v_lshlrev_b64_e32 v[19:20], 2, v[3:4]
	v_mov_b32_e32 v3, 0
	.loc	1 88 32 is_stmt 0               ; layer_norm_bwd.py:88:32
	s_clause 0x1                            ; 8-byte Folded Spill
	scratch_store_b32 off, v5, off offset:4
	scratch_store_b32 off, v3, off offset:8
	.loc	1 90 22 is_stmt 1               ; layer_norm_bwd.py:90:22
	s_and_saveexec_b32 s43, s42
	s_cbranch_execz .LBB0_7
; %bb.6:                                ;   in Loop: Header=BB0_3 Depth=1
	.loc	1 90 27 is_stmt 0               ; layer_norm_bwd.py:90:27
	s_wait_kmcnt 0x0
	v_add_co_u32 v3, s0, s8, v19
	s_wait_alu depctr_va_sdst(0)
	v_add_co_ci_u32_e64 v4, null, s9, v20, s0
	.loc	1 90 22                         ; layer_norm_bwd.py:90:22
	global_load_b32 v3, v[3:4], off
	s_wait_loadcnt 0x0
	scratch_store_b32 off, v3, off offset:8 ; 4-byte Folded Spill
.LBB0_7:                                ;   in Loop: Header=BB0_3 Depth=1
	.loc	1 0 22                          ; layer_norm_bwd.py:0:22
	s_or_b32 exec_lo, exec_lo, s43
	v_add_nc_u32_e32 v3, s1, v1
	.loc	1 87 19 is_stmt 1               ; layer_norm_bwd.py:87:19
	s_add_co_i32 s0, s41, 2
	.loc	1 88 32                         ; layer_norm_bwd.py:88:32
	s_wait_alu depctr_sa_sdst(0)
	s_cmp_lt_i32 s0, s2
	s_cselect_b32 s0, -1, 0
	.loc	1 90 27                         ; layer_norm_bwd.py:90:27
	v_ashrrev_i32_e32 v4, 31, v3
	.loc	1 88 38                         ; layer_norm_bwd.py:88:38
	s_wait_alu depctr_sa_sdst(0)
	s_and_b32 s43, vcc_lo, s0
	s_delay_alu instid0(VALU_DEP_1)
	v_lshlrev_b64_e32 v[21:22], 2, v[3:4]
	.loc	1 90 22                         ; layer_norm_bwd.py:90:22
	s_and_saveexec_b32 s44, s43
	s_cbranch_execz .LBB0_9
; %bb.8:                                ;   in Loop: Header=BB0_3 Depth=1
	.loc	1 90 27 is_stmt 0               ; layer_norm_bwd.py:90:27
	s_wait_kmcnt 0x0
	s_delay_alu instid0(VALU_DEP_1)
	v_add_co_u32 v3, s0, s8, v21
	s_wait_alu depctr_va_sdst(0)
	v_add_co_ci_u32_e64 v4, null, s9, v22, s0
	.loc	1 90 22                         ; layer_norm_bwd.py:90:22
	global_load_b32 v3, v[3:4], off
	s_wait_loadcnt 0x0
	scratch_store_b32 off, v3, off offset:4 ; 4-byte Folded Spill
.LBB0_9:                                ;   in Loop: Header=BB0_3 Depth=1
	.loc	1 0 22                          ; layer_norm_bwd.py:0:22
	s_or_b32 exec_lo, exec_lo, s44
	s_mul_i32 s0, s3, 3
	v_mov_b32_e32 v5, 0
	s_wait_alu depctr_sa_sdst(0)
	v_add_nc_u32_e32 v3, s0, v1
	.loc	1 87 19 is_stmt 1               ; layer_norm_bwd.py:87:19
	s_add_co_i32 s0, s41, 3
	.loc	1 88 32                         ; layer_norm_bwd.py:88:32
	s_wait_alu depctr_sa_sdst(0)
	s_cmp_lt_i32 s0, s2
	s_cselect_b32 s0, -1, 0
	.loc	1 90 27                         ; layer_norm_bwd.py:90:27
	v_ashrrev_i32_e32 v4, 31, v3
	.loc	1 88 38                         ; layer_norm_bwd.py:88:38
	s_wait_alu depctr_sa_sdst(0)
	s_and_b32 s44, vcc_lo, s0
	s_delay_alu instid0(VALU_DEP_1)
	v_lshlrev_b64_e32 v[129:130], 2, v[3:4]
	v_mov_b32_e32 v3, 0
	.loc	1 88 32 is_stmt 0               ; layer_norm_bwd.py:88:32
	s_clause 0x1                            ; 8-byte Folded Spill
	scratch_store_b32 off, v5, off offset:12
	scratch_store_b32 off, v3, off offset:16
	.loc	1 90 22 is_stmt 1               ; layer_norm_bwd.py:90:22
	s_and_saveexec_b32 s45, s44
	s_cbranch_execz .LBB0_11
; %bb.10:                               ;   in Loop: Header=BB0_3 Depth=1
	.loc	1 90 27 is_stmt 0               ; layer_norm_bwd.py:90:27
	s_wait_kmcnt 0x0
	v_add_co_u32 v3, s0, s8, v129
	s_wait_alu depctr_va_sdst(0)
	v_add_co_ci_u32_e64 v4, null, s9, v130, s0
	.loc	1 90 22                         ; layer_norm_bwd.py:90:22
	global_load_b32 v3, v[3:4], off
	s_wait_loadcnt 0x0
	scratch_store_b32 off, v3, off offset:16 ; 4-byte Folded Spill
.LBB0_11:                               ;   in Loop: Header=BB0_3 Depth=1
	.loc	1 0 22                          ; layer_norm_bwd.py:0:22
	s_or_b32 exec_lo, exec_lo, s45
	v_add_nc_u32_e32 v3, s12, v1
	.loc	1 87 19 is_stmt 1               ; layer_norm_bwd.py:87:19
	s_add_co_i32 s0, s41, 4
	.loc	1 88 32                         ; layer_norm_bwd.py:88:32
	s_wait_alu depctr_sa_sdst(0)
	s_cmp_lt_i32 s0, s2
	s_cselect_b32 s0, -1, 0
	.loc	1 90 27                         ; layer_norm_bwd.py:90:27
	v_ashrrev_i32_e32 v4, 31, v3
	.loc	1 88 38                         ; layer_norm_bwd.py:88:38
	s_wait_alu depctr_sa_sdst(0)
	s_and_b32 s45, vcc_lo, s0
	s_delay_alu instid0(VALU_DEP_1)
	v_lshlrev_b64_e32 v[131:132], 2, v[3:4]
	.loc	1 90 22                         ; layer_norm_bwd.py:90:22
	s_and_saveexec_b32 s46, s45
	s_cbranch_execz .LBB0_13
; %bb.12:                               ;   in Loop: Header=BB0_3 Depth=1
	.loc	1 90 27 is_stmt 0               ; layer_norm_bwd.py:90:27
	s_wait_kmcnt 0x0
	s_delay_alu instid0(VALU_DEP_1)
	v_add_co_u32 v3, s0, s8, v131
	s_wait_alu depctr_va_sdst(0)
	v_add_co_ci_u32_e64 v4, null, s9, v132, s0
	.loc	1 90 22                         ; layer_norm_bwd.py:90:22
	global_load_b32 v3, v[3:4], off
	s_wait_loadcnt 0x0
	scratch_store_b32 off, v3, off offset:12 ; 4-byte Folded Spill
.LBB0_13:                               ;   in Loop: Header=BB0_3 Depth=1
	.loc	1 0 22                          ; layer_norm_bwd.py:0:22
	s_or_b32 exec_lo, exec_lo, s46
	s_mul_i32 s0, s3, 5
	v_mov_b32_e32 v5, 0
	s_wait_alu depctr_sa_sdst(0)
	v_add_nc_u32_e32 v3, s0, v1
	.loc	1 87 19 is_stmt 1               ; layer_norm_bwd.py:87:19
	s_add_co_i32 s0, s41, 5
	.loc	1 88 32                         ; layer_norm_bwd.py:88:32
	s_wait_alu depctr_sa_sdst(0)
	s_cmp_lt_i32 s0, s2
	s_cselect_b32 s0, -1, 0
	.loc	1 90 27                         ; layer_norm_bwd.py:90:27
	v_ashrrev_i32_e32 v4, 31, v3
	.loc	1 88 38                         ; layer_norm_bwd.py:88:38
	s_wait_alu depctr_sa_sdst(0)
	s_and_b32 s46, vcc_lo, s0
	s_delay_alu instid0(VALU_DEP_1)
	v_lshlrev_b64_e32 v[3:4], 2, v[3:4]
	scratch_store_b64 off, v[3:4], off offset:224 ; 8-byte Folded Spill
	v_mov_b32_e32 v3, 0
	.loc	1 88 32 is_stmt 0               ; layer_norm_bwd.py:88:32
	s_clause 0x1                            ; 8-byte Folded Spill
	scratch_store_b32 off, v5, off offset:20
	scratch_store_b32 off, v3, off offset:24
	.loc	1 90 22 is_stmt 1               ; layer_norm_bwd.py:90:22
	s_and_saveexec_b32 s47, s46
	s_cbranch_execz .LBB0_15
; %bb.14:                               ;   in Loop: Header=BB0_3 Depth=1
	.loc	1 0 22 is_stmt 0                ; layer_norm_bwd.py:0:22
	scratch_load_b64 v[3:4], off, off offset:224 ; 8-byte Folded Reload
	.loc	1 90 27                         ; layer_norm_bwd.py:90:27
	s_wait_loadcnt 0x0
	s_wait_kmcnt 0x0
	v_add_co_u32 v3, s0, s8, v3
	s_wait_alu depctr_va_sdst(0)
	v_add_co_ci_u32_e64 v4, null, s9, v4, s0
	.loc	1 90 22                         ; layer_norm_bwd.py:90:22
	global_load_b32 v3, v[3:4], off
	s_wait_loadcnt 0x0
	scratch_store_b32 off, v3, off offset:24 ; 4-byte Folded Spill
.LBB0_15:                               ;   in Loop: Header=BB0_3 Depth=1
	.loc	1 0 22                          ; layer_norm_bwd.py:0:22
	s_or_b32 exec_lo, exec_lo, s47
	s_mul_i32 s0, s3, 6
	s_wait_alu depctr_sa_sdst(0)
	v_add_nc_u32_e32 v3, s0, v1
	.loc	1 87 19 is_stmt 1               ; layer_norm_bwd.py:87:19
	s_add_co_i32 s0, s41, 6
	.loc	1 88 32                         ; layer_norm_bwd.py:88:32
	s_wait_alu depctr_sa_sdst(0)
	s_cmp_lt_i32 s0, s2
	s_cselect_b32 s0, -1, 0
	.loc	1 90 27                         ; layer_norm_bwd.py:90:27
	v_ashrrev_i32_e32 v4, 31, v3
	.loc	1 88 38                         ; layer_norm_bwd.py:88:38
	s_wait_alu depctr_sa_sdst(0)
	s_and_b32 s47, vcc_lo, s0
	s_delay_alu instid0(VALU_DEP_1)
	v_lshlrev_b64_e32 v[3:4], 2, v[3:4]
	.loc	1 88 32 is_stmt 0               ; layer_norm_bwd.py:88:32
	scratch_store_b64 off, v[3:4], off offset:232 ; 8-byte Folded Spill
	.loc	1 90 22 is_stmt 1               ; layer_norm_bwd.py:90:22
	s_and_saveexec_b32 s48, s47
	s_cbranch_execz .LBB0_17
; %bb.16:                               ;   in Loop: Header=BB0_3 Depth=1
	.loc	1 0 22 is_stmt 0                ; layer_norm_bwd.py:0:22
	scratch_load_b64 v[3:4], off, off offset:232 ; 8-byte Folded Reload
	.loc	1 90 27                         ; layer_norm_bwd.py:90:27
	s_wait_loadcnt 0x0
	s_wait_kmcnt 0x0
	v_add_co_u32 v3, s0, s8, v3
	s_wait_alu depctr_va_sdst(0)
	v_add_co_ci_u32_e64 v4, null, s9, v4, s0
	.loc	1 90 22                         ; layer_norm_bwd.py:90:22
	global_load_b32 v3, v[3:4], off
	s_wait_loadcnt 0x0
	scratch_store_b32 off, v3, off offset:20 ; 4-byte Folded Spill
.LBB0_17:                               ;   in Loop: Header=BB0_3 Depth=1
	.loc	1 0 22                          ; layer_norm_bwd.py:0:22
	s_or_b32 exec_lo, exec_lo, s48
	s_mul_i32 s0, s3, 7
	v_mov_b32_e32 v5, 0
	s_wait_alu depctr_sa_sdst(0)
	v_add_nc_u32_e32 v3, s0, v1
	.loc	1 87 19 is_stmt 1               ; layer_norm_bwd.py:87:19
	s_add_co_i32 s0, s41, 7
	.loc	1 88 32                         ; layer_norm_bwd.py:88:32
	s_wait_alu depctr_sa_sdst(0)
	s_cmp_lt_i32 s0, s2
	s_cselect_b32 s0, -1, 0
	.loc	1 90 27                         ; layer_norm_bwd.py:90:27
	v_ashrrev_i32_e32 v4, 31, v3
	.loc	1 88 38                         ; layer_norm_bwd.py:88:38
	s_wait_alu depctr_sa_sdst(0)
	s_and_b32 s48, vcc_lo, s0
	s_delay_alu instid0(VALU_DEP_1)
	v_lshlrev_b64_e32 v[3:4], 2, v[3:4]
	scratch_store_b64 off, v[3:4], off offset:240 ; 8-byte Folded Spill
	v_mov_b32_e32 v3, 0
	.loc	1 88 32 is_stmt 0               ; layer_norm_bwd.py:88:32
	s_clause 0x1                            ; 8-byte Folded Spill
	scratch_store_b32 off, v5, off offset:28
	scratch_store_b32 off, v3, off offset:32
	.loc	1 90 22 is_stmt 1               ; layer_norm_bwd.py:90:22
	s_and_saveexec_b32 s49, s48
	s_cbranch_execz .LBB0_19
; %bb.18:                               ;   in Loop: Header=BB0_3 Depth=1
	.loc	1 0 22 is_stmt 0                ; layer_norm_bwd.py:0:22
	scratch_load_b64 v[3:4], off, off offset:240 ; 8-byte Folded Reload
	.loc	1 90 27                         ; layer_norm_bwd.py:90:27
	s_wait_loadcnt 0x0
	s_wait_kmcnt 0x0
	v_add_co_u32 v3, s0, s8, v3
	s_wait_alu depctr_va_sdst(0)
	v_add_co_ci_u32_e64 v4, null, s9, v4, s0
	.loc	1 90 22                         ; layer_norm_bwd.py:90:22
	global_load_b32 v3, v[3:4], off
	s_wait_loadcnt 0x0
	scratch_store_b32 off, v3, off offset:32 ; 4-byte Folded Spill
.LBB0_19:                               ;   in Loop: Header=BB0_3 Depth=1
	.loc	1 0 22                          ; layer_norm_bwd.py:0:22
	s_or_b32 exec_lo, exec_lo, s49
	v_add_nc_u32_e32 v3, s13, v1
	.loc	1 87 19 is_stmt 1               ; layer_norm_bwd.py:87:19
	s_add_co_i32 s0, s41, 8
	.loc	1 88 32                         ; layer_norm_bwd.py:88:32
	s_wait_alu depctr_sa_sdst(0)
	s_cmp_lt_i32 s0, s2
	s_cselect_b32 s0, -1, 0
	.loc	1 90 27                         ; layer_norm_bwd.py:90:27
	v_ashrrev_i32_e32 v4, 31, v3
	.loc	1 88 38                         ; layer_norm_bwd.py:88:38
	s_wait_alu depctr_sa_sdst(0)
	s_and_b32 s49, vcc_lo, s0
	s_delay_alu instid0(VALU_DEP_1)
	v_lshlrev_b64_e32 v[3:4], 2, v[3:4]
	.loc	1 88 32 is_stmt 0               ; layer_norm_bwd.py:88:32
	scratch_store_b64 off, v[3:4], off offset:248 ; 8-byte Folded Spill
	.loc	1 90 22 is_stmt 1               ; layer_norm_bwd.py:90:22
	s_and_saveexec_b32 s50, s49
	s_cbranch_execz .LBB0_21
; %bb.20:                               ;   in Loop: Header=BB0_3 Depth=1
	.loc	1 0 22 is_stmt 0                ; layer_norm_bwd.py:0:22
	scratch_load_b64 v[3:4], off, off offset:248 ; 8-byte Folded Reload
	.loc	1 90 27                         ; layer_norm_bwd.py:90:27
	s_wait_loadcnt 0x0
	s_wait_kmcnt 0x0
	v_add_co_u32 v3, s0, s8, v3
	s_wait_alu depctr_va_sdst(0)
	v_add_co_ci_u32_e64 v4, null, s9, v4, s0
	.loc	1 90 22                         ; layer_norm_bwd.py:90:22
	global_load_b32 v3, v[3:4], off
	s_wait_loadcnt 0x0
	scratch_store_b32 off, v3, off offset:28 ; 4-byte Folded Spill
.LBB0_21:                               ;   in Loop: Header=BB0_3 Depth=1
	.loc	1 0 22                          ; layer_norm_bwd.py:0:22
	s_or_b32 exec_lo, exec_lo, s50
	s_mul_i32 s0, s3, 9
	v_mov_b32_e32 v5, 0
	s_wait_alu depctr_sa_sdst(0)
	v_add_nc_u32_e32 v3, s0, v1
	.loc	1 87 19 is_stmt 1               ; layer_norm_bwd.py:87:19
	s_add_co_i32 s0, s41, 9
	.loc	1 88 32                         ; layer_norm_bwd.py:88:32
	s_wait_alu depctr_sa_sdst(0)
	s_cmp_lt_i32 s0, s2
	s_cselect_b32 s0, -1, 0
	.loc	1 90 27                         ; layer_norm_bwd.py:90:27
	v_ashrrev_i32_e32 v4, 31, v3
	.loc	1 88 38                         ; layer_norm_bwd.py:88:38
	s_wait_alu depctr_sa_sdst(0)
	s_and_b32 s50, vcc_lo, s0
	s_delay_alu instid0(VALU_DEP_1)
	v_lshlrev_b64_e32 v[3:4], 2, v[3:4]
	scratch_store_b64 off, v[3:4], off offset:256 ; 8-byte Folded Spill
	v_mov_b32_e32 v3, 0
	.loc	1 88 32 is_stmt 0               ; layer_norm_bwd.py:88:32
	s_clause 0x1                            ; 8-byte Folded Spill
	scratch_store_b32 off, v5, off offset:36
	scratch_store_b32 off, v3, off offset:40
	.loc	1 90 22 is_stmt 1               ; layer_norm_bwd.py:90:22
	s_and_saveexec_b32 s51, s50
	s_cbranch_execz .LBB0_23
; %bb.22:                               ;   in Loop: Header=BB0_3 Depth=1
	.loc	1 0 22 is_stmt 0                ; layer_norm_bwd.py:0:22
	scratch_load_b64 v[3:4], off, off offset:256 ; 8-byte Folded Reload
	.loc	1 90 27                         ; layer_norm_bwd.py:90:27
	s_wait_loadcnt 0x0
	s_wait_kmcnt 0x0
	v_add_co_u32 v3, s0, s8, v3
	s_wait_alu depctr_va_sdst(0)
	v_add_co_ci_u32_e64 v4, null, s9, v4, s0
	.loc	1 90 22                         ; layer_norm_bwd.py:90:22
	global_load_b32 v3, v[3:4], off
	s_wait_loadcnt 0x0
	scratch_store_b32 off, v3, off offset:40 ; 4-byte Folded Spill
.LBB0_23:                               ;   in Loop: Header=BB0_3 Depth=1
	.loc	1 0 22                          ; layer_norm_bwd.py:0:22
	s_or_b32 exec_lo, exec_lo, s51
	s_mul_i32 s0, s3, 10
	s_wait_alu depctr_sa_sdst(0)
	v_add_nc_u32_e32 v3, s0, v1
	.loc	1 87 19 is_stmt 1               ; layer_norm_bwd.py:87:19
	s_add_co_i32 s0, s41, 10
	.loc	1 88 32                         ; layer_norm_bwd.py:88:32
	s_wait_alu depctr_sa_sdst(0)
	s_cmp_lt_i32 s0, s2
	s_cselect_b32 s0, -1, 0
	.loc	1 90 27                         ; layer_norm_bwd.py:90:27
	v_ashrrev_i32_e32 v4, 31, v3
	.loc	1 88 38                         ; layer_norm_bwd.py:88:38
	s_wait_alu depctr_sa_sdst(0)
	s_and_b32 s51, vcc_lo, s0
	s_delay_alu instid0(VALU_DEP_1)
	v_lshlrev_b64_e32 v[3:4], 2, v[3:4]
	.loc	1 88 32 is_stmt 0               ; layer_norm_bwd.py:88:32
	scratch_store_b64 off, v[3:4], off offset:264 ; 8-byte Folded Spill
	.loc	1 90 22 is_stmt 1               ; layer_norm_bwd.py:90:22
	s_and_saveexec_b32 s52, s51
	s_cbranch_execz .LBB0_25
; %bb.24:                               ;   in Loop: Header=BB0_3 Depth=1
	.loc	1 0 22 is_stmt 0                ; layer_norm_bwd.py:0:22
	scratch_load_b64 v[3:4], off, off offset:264 ; 8-byte Folded Reload
	.loc	1 90 27                         ; layer_norm_bwd.py:90:27
	s_wait_loadcnt 0x0
	s_wait_kmcnt 0x0
	v_add_co_u32 v3, s0, s8, v3
	s_wait_alu depctr_va_sdst(0)
	v_add_co_ci_u32_e64 v4, null, s9, v4, s0
	.loc	1 90 22                         ; layer_norm_bwd.py:90:22
	global_load_b32 v3, v[3:4], off
	s_wait_loadcnt 0x0
	scratch_store_b32 off, v3, off offset:36 ; 4-byte Folded Spill
.LBB0_25:                               ;   in Loop: Header=BB0_3 Depth=1
	.loc	1 0 22                          ; layer_norm_bwd.py:0:22
	s_or_b32 exec_lo, exec_lo, s52
	s_mul_i32 s0, s3, 11
	v_mov_b32_e32 v5, 0
	s_wait_alu depctr_sa_sdst(0)
	v_add_nc_u32_e32 v3, s0, v1
	.loc	1 87 19 is_stmt 1               ; layer_norm_bwd.py:87:19
	s_add_co_i32 s0, s41, 11
	.loc	1 88 32                         ; layer_norm_bwd.py:88:32
	s_wait_alu depctr_sa_sdst(0)
	s_cmp_lt_i32 s0, s2
	s_cselect_b32 s0, -1, 0
	.loc	1 90 27                         ; layer_norm_bwd.py:90:27
	v_ashrrev_i32_e32 v4, 31, v3
	.loc	1 88 38                         ; layer_norm_bwd.py:88:38
	s_wait_alu depctr_sa_sdst(0)
	s_and_b32 s52, vcc_lo, s0
	s_delay_alu instid0(VALU_DEP_1)
	v_lshlrev_b64_e32 v[23:24], 2, v[3:4]
	v_mov_b32_e32 v3, 0
	.loc	1 88 32 is_stmt 0               ; layer_norm_bwd.py:88:32
	s_clause 0x1                            ; 8-byte Folded Spill
	scratch_store_b32 off, v5, off offset:44
	scratch_store_b32 off, v3, off offset:48
	.loc	1 90 22 is_stmt 1               ; layer_norm_bwd.py:90:22
	s_and_saveexec_b32 s53, s52
	s_cbranch_execz .LBB0_27
; %bb.26:                               ;   in Loop: Header=BB0_3 Depth=1
	.loc	1 90 27 is_stmt 0               ; layer_norm_bwd.py:90:27
	s_wait_kmcnt 0x0
	v_add_co_u32 v3, s0, s8, v23
	s_wait_alu depctr_va_sdst(0)
	v_add_co_ci_u32_e64 v4, null, s9, v24, s0
	.loc	1 90 22                         ; layer_norm_bwd.py:90:22
	global_load_b32 v3, v[3:4], off
	s_wait_loadcnt 0x0
	scratch_store_b32 off, v3, off offset:48 ; 4-byte Folded Spill
.LBB0_27:                               ;   in Loop: Header=BB0_3 Depth=1
	.loc	1 0 22                          ; layer_norm_bwd.py:0:22
	s_or_b32 exec_lo, exec_lo, s53
	s_mul_i32 s0, s3, 12
	s_wait_alu depctr_sa_sdst(0)
	v_add_nc_u32_e32 v3, s0, v1
	.loc	1 87 19 is_stmt 1               ; layer_norm_bwd.py:87:19
	s_add_co_i32 s0, s41, 12
	.loc	1 88 32                         ; layer_norm_bwd.py:88:32
	s_wait_alu depctr_sa_sdst(0)
	s_cmp_lt_i32 s0, s2
	s_cselect_b32 s0, -1, 0
	.loc	1 90 27                         ; layer_norm_bwd.py:90:27
	v_ashrrev_i32_e32 v4, 31, v3
	.loc	1 88 38                         ; layer_norm_bwd.py:88:38
	s_wait_alu depctr_sa_sdst(0)
	s_and_b32 s53, vcc_lo, s0
	s_delay_alu instid0(VALU_DEP_1)
	v_lshlrev_b64_e32 v[25:26], 2, v[3:4]
	.loc	1 90 22                         ; layer_norm_bwd.py:90:22
	s_and_saveexec_b32 s54, s53
	s_cbranch_execz .LBB0_29
; %bb.28:                               ;   in Loop: Header=BB0_3 Depth=1
	.loc	1 90 27 is_stmt 0               ; layer_norm_bwd.py:90:27
	s_wait_kmcnt 0x0
	s_delay_alu instid0(VALU_DEP_1)
	v_add_co_u32 v3, s0, s8, v25
	s_wait_alu depctr_va_sdst(0)
	v_add_co_ci_u32_e64 v4, null, s9, v26, s0
	.loc	1 90 22                         ; layer_norm_bwd.py:90:22
	global_load_b32 v3, v[3:4], off
	s_wait_loadcnt 0x0
	scratch_store_b32 off, v3, off offset:44 ; 4-byte Folded Spill
.LBB0_29:                               ;   in Loop: Header=BB0_3 Depth=1
	.loc	1 0 22                          ; layer_norm_bwd.py:0:22
	s_or_b32 exec_lo, exec_lo, s54
	s_mul_i32 s0, s3, 13
	v_mov_b32_e32 v5, 0
	s_wait_alu depctr_sa_sdst(0)
	v_add_nc_u32_e32 v3, s0, v1
	.loc	1 87 19 is_stmt 1               ; layer_norm_bwd.py:87:19
	s_add_co_i32 s0, s41, 13
	.loc	1 88 32                         ; layer_norm_bwd.py:88:32
	s_wait_alu depctr_sa_sdst(0)
	s_cmp_lt_i32 s0, s2
	s_cselect_b32 s0, -1, 0
	.loc	1 90 27                         ; layer_norm_bwd.py:90:27
	v_ashrrev_i32_e32 v4, 31, v3
	.loc	1 88 38                         ; layer_norm_bwd.py:88:38
	s_wait_alu depctr_sa_sdst(0)
	s_and_b32 s54, vcc_lo, s0
	s_delay_alu instid0(VALU_DEP_1)
	v_lshlrev_b64_e32 v[27:28], 2, v[3:4]
	v_mov_b32_e32 v3, 0
	.loc	1 88 32 is_stmt 0               ; layer_norm_bwd.py:88:32
	s_clause 0x1                            ; 8-byte Folded Spill
	scratch_store_b32 off, v5, off offset:52
	scratch_store_b32 off, v3, off offset:56
	.loc	1 90 22 is_stmt 1               ; layer_norm_bwd.py:90:22
	s_and_saveexec_b32 s55, s54
	s_cbranch_execz .LBB0_31
; %bb.30:                               ;   in Loop: Header=BB0_3 Depth=1
	.loc	1 90 27 is_stmt 0               ; layer_norm_bwd.py:90:27
	s_wait_kmcnt 0x0
	v_add_co_u32 v3, s0, s8, v27
	s_wait_alu depctr_va_sdst(0)
	v_add_co_ci_u32_e64 v4, null, s9, v28, s0
	.loc	1 90 22                         ; layer_norm_bwd.py:90:22
	global_load_b32 v3, v[3:4], off
	s_wait_loadcnt 0x0
	scratch_store_b32 off, v3, off offset:56 ; 4-byte Folded Spill
.LBB0_31:                               ;   in Loop: Header=BB0_3 Depth=1
	.loc	1 0 22                          ; layer_norm_bwd.py:0:22
	s_or_b32 exec_lo, exec_lo, s55
	s_mul_i32 s0, s3, 14
	s_wait_alu depctr_sa_sdst(0)
	v_add_nc_u32_e32 v3, s0, v1
	.loc	1 87 19 is_stmt 1               ; layer_norm_bwd.py:87:19
	s_add_co_i32 s0, s41, 14
	.loc	1 88 32                         ; layer_norm_bwd.py:88:32
	s_wait_alu depctr_sa_sdst(0)
	s_cmp_lt_i32 s0, s2
	s_cselect_b32 s0, -1, 0
	.loc	1 90 27                         ; layer_norm_bwd.py:90:27
	v_ashrrev_i32_e32 v4, 31, v3
	.loc	1 88 38                         ; layer_norm_bwd.py:88:38
	s_wait_alu depctr_sa_sdst(0)
	s_and_b32 s55, vcc_lo, s0
	s_delay_alu instid0(VALU_DEP_1)
	v_lshlrev_b64_e32 v[29:30], 2, v[3:4]
	.loc	1 90 22                         ; layer_norm_bwd.py:90:22
	s_and_saveexec_b32 s56, s55
	s_cbranch_execz .LBB0_33
; %bb.32:                               ;   in Loop: Header=BB0_3 Depth=1
	.loc	1 90 27 is_stmt 0               ; layer_norm_bwd.py:90:27
	s_wait_kmcnt 0x0
	s_delay_alu instid0(VALU_DEP_1)
	v_add_co_u32 v3, s0, s8, v29
	s_wait_alu depctr_va_sdst(0)
	v_add_co_ci_u32_e64 v4, null, s9, v30, s0
	.loc	1 90 22                         ; layer_norm_bwd.py:90:22
	global_load_b32 v3, v[3:4], off
	s_wait_loadcnt 0x0
	scratch_store_b32 off, v3, off offset:52 ; 4-byte Folded Spill
.LBB0_33:                               ;   in Loop: Header=BB0_3 Depth=1
	.loc	1 0 22                          ; layer_norm_bwd.py:0:22
	s_or_b32 exec_lo, exec_lo, s56
	s_mul_i32 s0, s3, 15
	v_mov_b32_e32 v5, 0
	s_wait_alu depctr_sa_sdst(0)
	v_add_nc_u32_e32 v3, s0, v1
	.loc	1 87 19 is_stmt 1               ; layer_norm_bwd.py:87:19
	s_add_co_i32 s0, s41, 15
	.loc	1 88 32                         ; layer_norm_bwd.py:88:32
	s_wait_alu depctr_sa_sdst(0)
	s_cmp_lt_i32 s0, s2
	s_cselect_b32 s0, -1, 0
	.loc	1 90 27                         ; layer_norm_bwd.py:90:27
	v_ashrrev_i32_e32 v4, 31, v3
	.loc	1 88 38                         ; layer_norm_bwd.py:88:38
	s_wait_alu depctr_sa_sdst(0)
	s_and_b32 s56, vcc_lo, s0
	s_delay_alu instid0(VALU_DEP_1)
	v_lshlrev_b64_e32 v[31:32], 2, v[3:4]
	v_mov_b32_e32 v3, 0
	.loc	1 88 32 is_stmt 0               ; layer_norm_bwd.py:88:32
	s_clause 0x1                            ; 8-byte Folded Spill
	scratch_store_b32 off, v5, off offset:60
	scratch_store_b32 off, v3, off offset:64
	.loc	1 90 22 is_stmt 1               ; layer_norm_bwd.py:90:22
	s_and_saveexec_b32 s57, s56
	s_cbranch_execz .LBB0_35
; %bb.34:                               ;   in Loop: Header=BB0_3 Depth=1
	.loc	1 90 27 is_stmt 0               ; layer_norm_bwd.py:90:27
	s_wait_kmcnt 0x0
	v_add_co_u32 v3, s0, s8, v31
	s_wait_alu depctr_va_sdst(0)
	v_add_co_ci_u32_e64 v4, null, s9, v32, s0
	.loc	1 90 22                         ; layer_norm_bwd.py:90:22
	global_load_b32 v3, v[3:4], off
	s_wait_loadcnt 0x0
	scratch_store_b32 off, v3, off offset:64 ; 4-byte Folded Spill
.LBB0_35:                               ;   in Loop: Header=BB0_3 Depth=1
	.loc	1 0 22                          ; layer_norm_bwd.py:0:22
	s_or_b32 exec_lo, exec_lo, s57
	v_add_nc_u32_e32 v3, s14, v1
	.loc	1 87 19 is_stmt 1               ; layer_norm_bwd.py:87:19
	s_add_co_i32 s0, s41, 16
	.loc	1 88 32                         ; layer_norm_bwd.py:88:32
	s_wait_alu depctr_sa_sdst(0)
	s_cmp_lt_i32 s0, s2
	s_cselect_b32 s0, -1, 0
	.loc	1 90 27                         ; layer_norm_bwd.py:90:27
	v_ashrrev_i32_e32 v4, 31, v3
	.loc	1 88 38                         ; layer_norm_bwd.py:88:38
	s_wait_alu depctr_sa_sdst(0)
	s_and_b32 s57, vcc_lo, s0
	s_delay_alu instid0(VALU_DEP_1)
	v_lshlrev_b64_e32 v[33:34], 2, v[3:4]
	.loc	1 90 22                         ; layer_norm_bwd.py:90:22
	s_and_saveexec_b32 s58, s57
	s_cbranch_execz .LBB0_37
; %bb.36:                               ;   in Loop: Header=BB0_3 Depth=1
	.loc	1 90 27 is_stmt 0               ; layer_norm_bwd.py:90:27
	s_wait_kmcnt 0x0
	s_delay_alu instid0(VALU_DEP_1)
	v_add_co_u32 v3, s0, s8, v33
	s_wait_alu depctr_va_sdst(0)
	v_add_co_ci_u32_e64 v4, null, s9, v34, s0
	.loc	1 90 22                         ; layer_norm_bwd.py:90:22
	global_load_b32 v3, v[3:4], off
	s_wait_loadcnt 0x0
	scratch_store_b32 off, v3, off offset:60 ; 4-byte Folded Spill
.LBB0_37:                               ;   in Loop: Header=BB0_3 Depth=1
	.loc	1 0 22                          ; layer_norm_bwd.py:0:22
	s_or_b32 exec_lo, exec_lo, s58
	s_mul_i32 s0, s3, 17
	v_mov_b32_e32 v5, 0
	s_wait_alu depctr_sa_sdst(0)
	v_add_nc_u32_e32 v3, s0, v1
	.loc	1 87 19 is_stmt 1               ; layer_norm_bwd.py:87:19
	s_add_co_i32 s0, s41, 17
	.loc	1 88 32                         ; layer_norm_bwd.py:88:32
	s_wait_alu depctr_sa_sdst(0)
	s_cmp_lt_i32 s0, s2
	s_cselect_b32 s0, -1, 0
	.loc	1 90 27                         ; layer_norm_bwd.py:90:27
	v_ashrrev_i32_e32 v4, 31, v3
	.loc	1 88 38                         ; layer_norm_bwd.py:88:38
	s_wait_alu depctr_sa_sdst(0)
	s_and_b32 s58, vcc_lo, s0
	s_delay_alu instid0(VALU_DEP_1)
	v_lshlrev_b64_e32 v[35:36], 2, v[3:4]
	v_mov_b32_e32 v3, 0
	.loc	1 88 32 is_stmt 0               ; layer_norm_bwd.py:88:32
	s_clause 0x1                            ; 8-byte Folded Spill
	scratch_store_b32 off, v5, off offset:68
	scratch_store_b32 off, v3, off offset:72
	.loc	1 90 22 is_stmt 1               ; layer_norm_bwd.py:90:22
	s_and_saveexec_b32 s59, s58
	s_cbranch_execz .LBB0_39
; %bb.38:                               ;   in Loop: Header=BB0_3 Depth=1
	.loc	1 90 27 is_stmt 0               ; layer_norm_bwd.py:90:27
	s_wait_kmcnt 0x0
	v_add_co_u32 v3, s0, s8, v35
	s_wait_alu depctr_va_sdst(0)
	v_add_co_ci_u32_e64 v4, null, s9, v36, s0
	.loc	1 90 22                         ; layer_norm_bwd.py:90:22
	global_load_b32 v3, v[3:4], off
	s_wait_loadcnt 0x0
	scratch_store_b32 off, v3, off offset:72 ; 4-byte Folded Spill
.LBB0_39:                               ;   in Loop: Header=BB0_3 Depth=1
	.loc	1 0 22                          ; layer_norm_bwd.py:0:22
	s_or_b32 exec_lo, exec_lo, s59
	s_mul_i32 s0, s3, 18
	s_wait_alu depctr_sa_sdst(0)
	v_add_nc_u32_e32 v3, s0, v1
	.loc	1 87 19 is_stmt 1               ; layer_norm_bwd.py:87:19
	s_add_co_i32 s0, s41, 18
	.loc	1 88 32                         ; layer_norm_bwd.py:88:32
	s_wait_alu depctr_sa_sdst(0)
	s_cmp_lt_i32 s0, s2
	s_cselect_b32 s0, -1, 0
	.loc	1 90 27                         ; layer_norm_bwd.py:90:27
	v_ashrrev_i32_e32 v4, 31, v3
	.loc	1 88 38                         ; layer_norm_bwd.py:88:38
	s_wait_alu depctr_sa_sdst(0)
	s_and_b32 s59, vcc_lo, s0
	s_delay_alu instid0(VALU_DEP_1)
	v_lshlrev_b64_e32 v[37:38], 2, v[3:4]
	.loc	1 90 22                         ; layer_norm_bwd.py:90:22
	s_and_saveexec_b32 s60, s59
	s_cbranch_execz .LBB0_41
; %bb.40:                               ;   in Loop: Header=BB0_3 Depth=1
	.loc	1 90 27 is_stmt 0               ; layer_norm_bwd.py:90:27
	s_wait_kmcnt 0x0
	s_delay_alu instid0(VALU_DEP_1)
	v_add_co_u32 v3, s0, s8, v37
	s_wait_alu depctr_va_sdst(0)
	v_add_co_ci_u32_e64 v4, null, s9, v38, s0
	.loc	1 90 22                         ; layer_norm_bwd.py:90:22
	global_load_b32 v3, v[3:4], off
	s_wait_loadcnt 0x0
	scratch_store_b32 off, v3, off offset:68 ; 4-byte Folded Spill
.LBB0_41:                               ;   in Loop: Header=BB0_3 Depth=1
	.loc	1 0 22                          ; layer_norm_bwd.py:0:22
	s_or_b32 exec_lo, exec_lo, s60
	s_mul_i32 s0, s3, 19
	v_mov_b32_e32 v5, 0
	s_wait_alu depctr_sa_sdst(0)
	v_add_nc_u32_e32 v3, s0, v1
	.loc	1 87 19 is_stmt 1               ; layer_norm_bwd.py:87:19
	s_add_co_i32 s0, s41, 19
	.loc	1 88 32                         ; layer_norm_bwd.py:88:32
	s_wait_alu depctr_sa_sdst(0)
	s_cmp_lt_i32 s0, s2
	s_cselect_b32 s0, -1, 0
	.loc	1 90 27                         ; layer_norm_bwd.py:90:27
	v_ashrrev_i32_e32 v4, 31, v3
	.loc	1 88 38                         ; layer_norm_bwd.py:88:38
	s_wait_alu depctr_sa_sdst(0)
	s_and_b32 s60, vcc_lo, s0
	s_delay_alu instid0(VALU_DEP_1)
	v_lshlrev_b64_e32 v[39:40], 2, v[3:4]
	v_mov_b32_e32 v3, 0
	.loc	1 88 32 is_stmt 0               ; layer_norm_bwd.py:88:32
	s_clause 0x1                            ; 8-byte Folded Spill
	scratch_store_b32 off, v5, off offset:76
	scratch_store_b32 off, v3, off offset:80
	.loc	1 90 22 is_stmt 1               ; layer_norm_bwd.py:90:22
	s_and_saveexec_b32 s61, s60
	s_cbranch_execz .LBB0_43
; %bb.42:                               ;   in Loop: Header=BB0_3 Depth=1
	.loc	1 90 27 is_stmt 0               ; layer_norm_bwd.py:90:27
	s_wait_kmcnt 0x0
	v_add_co_u32 v3, s0, s8, v39
	s_wait_alu depctr_va_sdst(0)
	v_add_co_ci_u32_e64 v4, null, s9, v40, s0
	.loc	1 90 22                         ; layer_norm_bwd.py:90:22
	global_load_b32 v3, v[3:4], off
	s_wait_loadcnt 0x0
	scratch_store_b32 off, v3, off offset:80 ; 4-byte Folded Spill
.LBB0_43:                               ;   in Loop: Header=BB0_3 Depth=1
	.loc	1 0 22                          ; layer_norm_bwd.py:0:22
	s_or_b32 exec_lo, exec_lo, s61
	s_mul_i32 s0, s3, 20
	s_wait_alu depctr_sa_sdst(0)
	v_add_nc_u32_e32 v3, s0, v1
	.loc	1 87 19 is_stmt 1               ; layer_norm_bwd.py:87:19
	s_add_co_i32 s0, s41, 20
	.loc	1 88 32                         ; layer_norm_bwd.py:88:32
	s_wait_alu depctr_sa_sdst(0)
	s_cmp_lt_i32 s0, s2
	s_cselect_b32 s0, -1, 0
	.loc	1 90 27                         ; layer_norm_bwd.py:90:27
	v_ashrrev_i32_e32 v4, 31, v3
	.loc	1 88 38                         ; layer_norm_bwd.py:88:38
	s_wait_alu depctr_sa_sdst(0)
	s_and_b32 s61, vcc_lo, s0
	s_delay_alu instid0(VALU_DEP_1)
	v_lshlrev_b64_e32 v[41:42], 2, v[3:4]
	.loc	1 90 22                         ; layer_norm_bwd.py:90:22
	s_and_saveexec_b32 s62, s61
	s_cbranch_execz .LBB0_45
; %bb.44:                               ;   in Loop: Header=BB0_3 Depth=1
	.loc	1 90 27 is_stmt 0               ; layer_norm_bwd.py:90:27
	s_wait_kmcnt 0x0
	s_delay_alu instid0(VALU_DEP_1)
	v_add_co_u32 v3, s0, s8, v41
	s_wait_alu depctr_va_sdst(0)
	v_add_co_ci_u32_e64 v4, null, s9, v42, s0
	.loc	1 90 22                         ; layer_norm_bwd.py:90:22
	global_load_b32 v3, v[3:4], off
	s_wait_loadcnt 0x0
	scratch_store_b32 off, v3, off offset:76 ; 4-byte Folded Spill
.LBB0_45:                               ;   in Loop: Header=BB0_3 Depth=1
	.loc	1 0 22                          ; layer_norm_bwd.py:0:22
	s_or_b32 exec_lo, exec_lo, s62
	s_mul_i32 s0, s3, 21
	v_mov_b32_e32 v5, 0
	s_wait_alu depctr_sa_sdst(0)
	v_add_nc_u32_e32 v3, s0, v1
	.loc	1 87 19 is_stmt 1               ; layer_norm_bwd.py:87:19
	s_add_co_i32 s0, s41, 21
	.loc	1 88 32                         ; layer_norm_bwd.py:88:32
	s_wait_alu depctr_sa_sdst(0)
	s_cmp_lt_i32 s0, s2
	s_cselect_b32 s0, -1, 0
	.loc	1 90 27                         ; layer_norm_bwd.py:90:27
	v_ashrrev_i32_e32 v4, 31, v3
	.loc	1 88 38                         ; layer_norm_bwd.py:88:38
	s_wait_alu depctr_sa_sdst(0)
	s_and_b32 s62, vcc_lo, s0
	s_delay_alu instid0(VALU_DEP_1)
	v_lshlrev_b64_e32 v[43:44], 2, v[3:4]
	v_mov_b32_e32 v3, 0
	.loc	1 88 32 is_stmt 0               ; layer_norm_bwd.py:88:32
	s_clause 0x1                            ; 8-byte Folded Spill
	scratch_store_b32 off, v5, off offset:84
	scratch_store_b32 off, v3, off offset:88
	.loc	1 90 22 is_stmt 1               ; layer_norm_bwd.py:90:22
	s_and_saveexec_b32 s63, s62
	s_cbranch_execz .LBB0_47
; %bb.46:                               ;   in Loop: Header=BB0_3 Depth=1
	.loc	1 90 27 is_stmt 0               ; layer_norm_bwd.py:90:27
	s_wait_kmcnt 0x0
	v_add_co_u32 v3, s0, s8, v43
	s_wait_alu depctr_va_sdst(0)
	v_add_co_ci_u32_e64 v4, null, s9, v44, s0
	.loc	1 90 22                         ; layer_norm_bwd.py:90:22
	global_load_b32 v3, v[3:4], off
	s_wait_loadcnt 0x0
	scratch_store_b32 off, v3, off offset:88 ; 4-byte Folded Spill
.LBB0_47:                               ;   in Loop: Header=BB0_3 Depth=1
	.loc	1 0 22                          ; layer_norm_bwd.py:0:22
	s_or_b32 exec_lo, exec_lo, s63
	s_mul_i32 s0, s3, 22
	s_wait_alu depctr_sa_sdst(0)
	v_add_nc_u32_e32 v3, s0, v1
	.loc	1 87 19 is_stmt 1               ; layer_norm_bwd.py:87:19
	s_add_co_i32 s0, s41, 22
	.loc	1 88 32                         ; layer_norm_bwd.py:88:32
	s_wait_alu depctr_sa_sdst(0)
	s_cmp_lt_i32 s0, s2
	s_cselect_b32 s0, -1, 0
	.loc	1 90 27                         ; layer_norm_bwd.py:90:27
	v_ashrrev_i32_e32 v4, 31, v3
	.loc	1 88 38                         ; layer_norm_bwd.py:88:38
	s_wait_alu depctr_sa_sdst(0)
	s_and_b32 s63, vcc_lo, s0
	s_delay_alu instid0(VALU_DEP_1)
	v_lshlrev_b64_e32 v[45:46], 2, v[3:4]
	.loc	1 90 22                         ; layer_norm_bwd.py:90:22
	s_and_saveexec_b32 s64, s63
	s_cbranch_execz .LBB0_49
; %bb.48:                               ;   in Loop: Header=BB0_3 Depth=1
	.loc	1 90 27 is_stmt 0               ; layer_norm_bwd.py:90:27
	s_wait_kmcnt 0x0
	s_delay_alu instid0(VALU_DEP_1)
	v_add_co_u32 v3, s0, s8, v45
	s_wait_alu depctr_va_sdst(0)
	v_add_co_ci_u32_e64 v4, null, s9, v46, s0
	.loc	1 90 22                         ; layer_norm_bwd.py:90:22
	global_load_b32 v3, v[3:4], off
	s_wait_loadcnt 0x0
	scratch_store_b32 off, v3, off offset:84 ; 4-byte Folded Spill
.LBB0_49:                               ;   in Loop: Header=BB0_3 Depth=1
	.loc	1 0 22                          ; layer_norm_bwd.py:0:22
	s_or_b32 exec_lo, exec_lo, s64
	s_mul_i32 s0, s3, 23
	v_mov_b32_e32 v5, 0
	s_wait_alu depctr_sa_sdst(0)
	v_add_nc_u32_e32 v3, s0, v1
	.loc	1 87 19 is_stmt 1               ; layer_norm_bwd.py:87:19
	s_add_co_i32 s0, s41, 23
	.loc	1 88 32                         ; layer_norm_bwd.py:88:32
	s_wait_alu depctr_sa_sdst(0)
	s_cmp_lt_i32 s0, s2
	s_cselect_b32 s0, -1, 0
	.loc	1 90 27                         ; layer_norm_bwd.py:90:27
	v_ashrrev_i32_e32 v4, 31, v3
	.loc	1 88 38                         ; layer_norm_bwd.py:88:38
	s_wait_alu depctr_sa_sdst(0)
	s_and_b32 s64, vcc_lo, s0
	s_delay_alu instid0(VALU_DEP_1)
	v_lshlrev_b64_e32 v[47:48], 2, v[3:4]
	v_mov_b32_e32 v3, 0
	.loc	1 88 32 is_stmt 0               ; layer_norm_bwd.py:88:32
	s_clause 0x1                            ; 8-byte Folded Spill
	scratch_store_b32 off, v5, off offset:92
	scratch_store_b32 off, v3, off offset:96
	.loc	1 90 22 is_stmt 1               ; layer_norm_bwd.py:90:22
	s_and_saveexec_b32 s65, s64
	s_cbranch_execz .LBB0_51
; %bb.50:                               ;   in Loop: Header=BB0_3 Depth=1
	.loc	1 90 27 is_stmt 0               ; layer_norm_bwd.py:90:27
	s_wait_kmcnt 0x0
	v_add_co_u32 v3, s0, s8, v47
	s_wait_alu depctr_va_sdst(0)
	v_add_co_ci_u32_e64 v4, null, s9, v48, s0
	.loc	1 90 22                         ; layer_norm_bwd.py:90:22
	global_load_b32 v3, v[3:4], off
	s_wait_loadcnt 0x0
	scratch_store_b32 off, v3, off offset:96 ; 4-byte Folded Spill
.LBB0_51:                               ;   in Loop: Header=BB0_3 Depth=1
	.loc	1 0 22                          ; layer_norm_bwd.py:0:22
	s_or_b32 exec_lo, exec_lo, s65
	s_mul_i32 s0, s3, 24
	s_wait_alu depctr_sa_sdst(0)
	v_add_nc_u32_e32 v3, s0, v1
	.loc	1 87 19 is_stmt 1               ; layer_norm_bwd.py:87:19
	s_add_co_i32 s0, s41, 24
	.loc	1 88 32                         ; layer_norm_bwd.py:88:32
	s_wait_alu depctr_sa_sdst(0)
	s_cmp_lt_i32 s0, s2
	s_cselect_b32 s0, -1, 0
	.loc	1 90 27                         ; layer_norm_bwd.py:90:27
	v_ashrrev_i32_e32 v4, 31, v3
	.loc	1 88 38                         ; layer_norm_bwd.py:88:38
	s_wait_alu depctr_sa_sdst(0)
	s_and_b32 s65, vcc_lo, s0
	s_delay_alu instid0(VALU_DEP_1)
	v_lshlrev_b64_e32 v[49:50], 2, v[3:4]
	.loc	1 90 22                         ; layer_norm_bwd.py:90:22
	s_and_saveexec_b32 s66, s65
	s_cbranch_execz .LBB0_53
; %bb.52:                               ;   in Loop: Header=BB0_3 Depth=1
	.loc	1 90 27 is_stmt 0               ; layer_norm_bwd.py:90:27
	s_wait_kmcnt 0x0
	s_delay_alu instid0(VALU_DEP_1)
	v_add_co_u32 v3, s0, s8, v49
	s_wait_alu depctr_va_sdst(0)
	v_add_co_ci_u32_e64 v4, null, s9, v50, s0
	.loc	1 90 22                         ; layer_norm_bwd.py:90:22
	global_load_b32 v3, v[3:4], off
	s_wait_loadcnt 0x0
	scratch_store_b32 off, v3, off offset:92 ; 4-byte Folded Spill
.LBB0_53:                               ;   in Loop: Header=BB0_3 Depth=1
	.loc	1 0 22                          ; layer_norm_bwd.py:0:22
	s_or_b32 exec_lo, exec_lo, s66
	s_mul_i32 s0, s3, 25
	v_mov_b32_e32 v5, 0
	s_wait_alu depctr_sa_sdst(0)
	v_add_nc_u32_e32 v3, s0, v1
	.loc	1 87 19 is_stmt 1               ; layer_norm_bwd.py:87:19
	s_add_co_i32 s0, s41, 25
	.loc	1 88 32                         ; layer_norm_bwd.py:88:32
	s_wait_alu depctr_sa_sdst(0)
	s_cmp_lt_i32 s0, s2
	s_cselect_b32 s0, -1, 0
	.loc	1 90 27                         ; layer_norm_bwd.py:90:27
	v_ashrrev_i32_e32 v4, 31, v3
	.loc	1 88 38                         ; layer_norm_bwd.py:88:38
	s_wait_alu depctr_sa_sdst(0)
	s_and_b32 s66, vcc_lo, s0
	s_delay_alu instid0(VALU_DEP_1)
	v_lshlrev_b64_e32 v[51:52], 2, v[3:4]
	v_mov_b32_e32 v3, 0
	.loc	1 88 32 is_stmt 0               ; layer_norm_bwd.py:88:32
	s_clause 0x1                            ; 8-byte Folded Spill
	scratch_store_b32 off, v5, off offset:100
	scratch_store_b32 off, v3, off offset:104
	.loc	1 90 22 is_stmt 1               ; layer_norm_bwd.py:90:22
	s_and_saveexec_b32 s67, s66
	s_cbranch_execz .LBB0_55
; %bb.54:                               ;   in Loop: Header=BB0_3 Depth=1
	.loc	1 90 27 is_stmt 0               ; layer_norm_bwd.py:90:27
	s_wait_kmcnt 0x0
	v_add_co_u32 v3, s0, s8, v51
	s_wait_alu depctr_va_sdst(0)
	v_add_co_ci_u32_e64 v4, null, s9, v52, s0
	.loc	1 90 22                         ; layer_norm_bwd.py:90:22
	global_load_b32 v3, v[3:4], off
	s_wait_loadcnt 0x0
	scratch_store_b32 off, v3, off offset:104 ; 4-byte Folded Spill
.LBB0_55:                               ;   in Loop: Header=BB0_3 Depth=1
	.loc	1 0 22                          ; layer_norm_bwd.py:0:22
	s_or_b32 exec_lo, exec_lo, s67
	s_mul_i32 s0, s3, 26
	s_wait_alu depctr_sa_sdst(0)
	v_add_nc_u32_e32 v3, s0, v1
	.loc	1 87 19 is_stmt 1               ; layer_norm_bwd.py:87:19
	s_add_co_i32 s0, s41, 26
	.loc	1 88 32                         ; layer_norm_bwd.py:88:32
	s_wait_alu depctr_sa_sdst(0)
	s_cmp_lt_i32 s0, s2
	s_cselect_b32 s0, -1, 0
	.loc	1 90 27                         ; layer_norm_bwd.py:90:27
	v_ashrrev_i32_e32 v4, 31, v3
	.loc	1 88 38                         ; layer_norm_bwd.py:88:38
	s_wait_alu depctr_sa_sdst(0)
	s_and_b32 s67, vcc_lo, s0
	s_delay_alu instid0(VALU_DEP_1)
	v_lshlrev_b64_e32 v[53:54], 2, v[3:4]
	.loc	1 90 22                         ; layer_norm_bwd.py:90:22
	s_and_saveexec_b32 s68, s67
	s_cbranch_execz .LBB0_57
; %bb.56:                               ;   in Loop: Header=BB0_3 Depth=1
	.loc	1 90 27 is_stmt 0               ; layer_norm_bwd.py:90:27
	s_wait_kmcnt 0x0
	s_delay_alu instid0(VALU_DEP_1)
	v_add_co_u32 v3, s0, s8, v53
	s_wait_alu depctr_va_sdst(0)
	v_add_co_ci_u32_e64 v4, null, s9, v54, s0
	.loc	1 90 22                         ; layer_norm_bwd.py:90:22
	global_load_b32 v3, v[3:4], off
	s_wait_loadcnt 0x0
	scratch_store_b32 off, v3, off offset:100 ; 4-byte Folded Spill
.LBB0_57:                               ;   in Loop: Header=BB0_3 Depth=1
	.loc	1 0 22                          ; layer_norm_bwd.py:0:22
	s_or_b32 exec_lo, exec_lo, s68
	s_mul_i32 s0, s3, 27
	v_mov_b32_e32 v5, 0
	s_wait_alu depctr_sa_sdst(0)
	v_add_nc_u32_e32 v3, s0, v1
	.loc	1 87 19 is_stmt 1               ; layer_norm_bwd.py:87:19
	s_add_co_i32 s0, s41, 27
	.loc	1 88 32                         ; layer_norm_bwd.py:88:32
	s_wait_alu depctr_sa_sdst(0)
	s_cmp_lt_i32 s0, s2
	s_cselect_b32 s0, -1, 0
	.loc	1 90 27                         ; layer_norm_bwd.py:90:27
	v_ashrrev_i32_e32 v4, 31, v3
	.loc	1 88 38                         ; layer_norm_bwd.py:88:38
	s_wait_alu depctr_sa_sdst(0)
	s_and_b32 s68, vcc_lo, s0
	s_delay_alu instid0(VALU_DEP_1)
	v_lshlrev_b64_e32 v[55:56], 2, v[3:4]
	v_mov_b32_e32 v3, 0
	.loc	1 88 32 is_stmt 0               ; layer_norm_bwd.py:88:32
	s_clause 0x1                            ; 8-byte Folded Spill
	scratch_store_b32 off, v5, off offset:108
	scratch_store_b32 off, v3, off offset:112
	.loc	1 90 22 is_stmt 1               ; layer_norm_bwd.py:90:22
	s_and_saveexec_b32 s69, s68
	s_cbranch_execz .LBB0_59
; %bb.58:                               ;   in Loop: Header=BB0_3 Depth=1
	.loc	1 90 27 is_stmt 0               ; layer_norm_bwd.py:90:27
	s_wait_kmcnt 0x0
	v_add_co_u32 v3, s0, s8, v55
	s_wait_alu depctr_va_sdst(0)
	v_add_co_ci_u32_e64 v4, null, s9, v56, s0
	.loc	1 90 22                         ; layer_norm_bwd.py:90:22
	global_load_b32 v3, v[3:4], off
	s_wait_loadcnt 0x0
	scratch_store_b32 off, v3, off offset:112 ; 4-byte Folded Spill
.LBB0_59:                               ;   in Loop: Header=BB0_3 Depth=1
	.loc	1 0 22                          ; layer_norm_bwd.py:0:22
	s_or_b32 exec_lo, exec_lo, s69
	s_mul_i32 s0, s3, 28
	s_wait_alu depctr_sa_sdst(0)
	v_add_nc_u32_e32 v3, s0, v1
	.loc	1 87 19 is_stmt 1               ; layer_norm_bwd.py:87:19
	s_add_co_i32 s0, s41, 28
	.loc	1 88 32                         ; layer_norm_bwd.py:88:32
	s_wait_alu depctr_sa_sdst(0)
	s_cmp_lt_i32 s0, s2
	s_cselect_b32 s0, -1, 0
	.loc	1 90 27                         ; layer_norm_bwd.py:90:27
	v_ashrrev_i32_e32 v4, 31, v3
	.loc	1 88 38                         ; layer_norm_bwd.py:88:38
	s_wait_alu depctr_sa_sdst(0)
	s_and_b32 s69, vcc_lo, s0
	s_delay_alu instid0(VALU_DEP_1)
	v_lshlrev_b64_e32 v[57:58], 2, v[3:4]
	.loc	1 90 22                         ; layer_norm_bwd.py:90:22
	s_and_saveexec_b32 s70, s69
	s_cbranch_execz .LBB0_61
; %bb.60:                               ;   in Loop: Header=BB0_3 Depth=1
	.loc	1 90 27 is_stmt 0               ; layer_norm_bwd.py:90:27
	s_wait_kmcnt 0x0
	s_delay_alu instid0(VALU_DEP_1)
	v_add_co_u32 v3, s0, s8, v57
	s_wait_alu depctr_va_sdst(0)
	v_add_co_ci_u32_e64 v4, null, s9, v58, s0
	.loc	1 90 22                         ; layer_norm_bwd.py:90:22
	global_load_b32 v3, v[3:4], off
	s_wait_loadcnt 0x0
	scratch_store_b32 off, v3, off offset:108 ; 4-byte Folded Spill
.LBB0_61:                               ;   in Loop: Header=BB0_3 Depth=1
	.loc	1 0 22                          ; layer_norm_bwd.py:0:22
	s_or_b32 exec_lo, exec_lo, s70
	s_mul_i32 s0, s3, 29
	v_mov_b32_e32 v5, 0
	s_wait_alu depctr_sa_sdst(0)
	v_add_nc_u32_e32 v3, s0, v1
	.loc	1 87 19 is_stmt 1               ; layer_norm_bwd.py:87:19
	s_add_co_i32 s0, s41, 29
	.loc	1 88 32                         ; layer_norm_bwd.py:88:32
	s_wait_alu depctr_sa_sdst(0)
	s_cmp_lt_i32 s0, s2
	s_cselect_b32 s0, -1, 0
	.loc	1 90 27                         ; layer_norm_bwd.py:90:27
	v_ashrrev_i32_e32 v4, 31, v3
	.loc	1 88 38                         ; layer_norm_bwd.py:88:38
	s_wait_alu depctr_sa_sdst(0)
	s_and_b32 s70, vcc_lo, s0
	s_delay_alu instid0(VALU_DEP_1)
	v_lshlrev_b64_e32 v[59:60], 2, v[3:4]
	v_mov_b32_e32 v3, 0
	.loc	1 88 32 is_stmt 0               ; layer_norm_bwd.py:88:32
	s_clause 0x1                            ; 8-byte Folded Spill
	scratch_store_b32 off, v5, off offset:116
	scratch_store_b32 off, v3, off offset:120
	.loc	1 90 22 is_stmt 1               ; layer_norm_bwd.py:90:22
	s_and_saveexec_b32 s71, s70
	s_cbranch_execz .LBB0_63
; %bb.62:                               ;   in Loop: Header=BB0_3 Depth=1
	.loc	1 90 27 is_stmt 0               ; layer_norm_bwd.py:90:27
	s_wait_kmcnt 0x0
	v_add_co_u32 v3, s0, s8, v59
	s_wait_alu depctr_va_sdst(0)
	v_add_co_ci_u32_e64 v4, null, s9, v60, s0
	.loc	1 90 22                         ; layer_norm_bwd.py:90:22
	global_load_b32 v3, v[3:4], off
	s_wait_loadcnt 0x0
	scratch_store_b32 off, v3, off offset:120 ; 4-byte Folded Spill
.LBB0_63:                               ;   in Loop: Header=BB0_3 Depth=1
	.loc	1 0 22                          ; layer_norm_bwd.py:0:22
	s_or_b32 exec_lo, exec_lo, s71
	s_mul_i32 s0, s3, 30
	s_wait_alu depctr_sa_sdst(0)
	v_add_nc_u32_e32 v3, s0, v1
	.loc	1 87 19 is_stmt 1               ; layer_norm_bwd.py:87:19
	s_add_co_i32 s0, s41, 30
	.loc	1 88 32                         ; layer_norm_bwd.py:88:32
	s_wait_alu depctr_sa_sdst(0)
	s_cmp_lt_i32 s0, s2
	s_cselect_b32 s0, -1, 0
	.loc	1 90 27                         ; layer_norm_bwd.py:90:27
	v_ashrrev_i32_e32 v4, 31, v3
	.loc	1 88 38                         ; layer_norm_bwd.py:88:38
	s_wait_alu depctr_sa_sdst(0)
	s_and_b32 s71, vcc_lo, s0
	s_delay_alu instid0(VALU_DEP_1)
	v_lshlrev_b64_e32 v[61:62], 2, v[3:4]
	.loc	1 90 22                         ; layer_norm_bwd.py:90:22
	s_and_saveexec_b32 s72, s71
	s_cbranch_execz .LBB0_65
; %bb.64:                               ;   in Loop: Header=BB0_3 Depth=1
	.loc	1 90 27 is_stmt 0               ; layer_norm_bwd.py:90:27
	s_wait_kmcnt 0x0
	s_delay_alu instid0(VALU_DEP_1)
	v_add_co_u32 v3, s0, s8, v61
	s_wait_alu depctr_va_sdst(0)
	v_add_co_ci_u32_e64 v4, null, s9, v62, s0
	.loc	1 90 22                         ; layer_norm_bwd.py:90:22
	global_load_b32 v3, v[3:4], off
	s_wait_loadcnt 0x0
	scratch_store_b32 off, v3, off offset:116 ; 4-byte Folded Spill
.LBB0_65:                               ;   in Loop: Header=BB0_3 Depth=1
	.loc	1 0 22                          ; layer_norm_bwd.py:0:22
	s_or_b32 exec_lo, exec_lo, s72
	s_mul_i32 s0, s3, 31
	v_mov_b32_e32 v5, 0
	s_wait_alu depctr_sa_sdst(0)
	v_add_nc_u32_e32 v3, s0, v1
	.loc	1 87 19 is_stmt 1               ; layer_norm_bwd.py:87:19
	s_add_co_i32 s0, s41, 31
	.loc	1 88 32                         ; layer_norm_bwd.py:88:32
	s_wait_alu depctr_sa_sdst(0)
	s_cmp_lt_i32 s0, s2
	s_cselect_b32 s0, -1, 0
	.loc	1 90 27                         ; layer_norm_bwd.py:90:27
	v_ashrrev_i32_e32 v4, 31, v3
	.loc	1 88 38                         ; layer_norm_bwd.py:88:38
	s_wait_alu depctr_sa_sdst(0)
	s_and_b32 s72, vcc_lo, s0
	s_delay_alu instid0(VALU_DEP_1)
	v_lshlrev_b64_e32 v[63:64], 2, v[3:4]
	v_mov_b32_e32 v3, 0
	.loc	1 88 32 is_stmt 0               ; layer_norm_bwd.py:88:32
	s_clause 0x1                            ; 8-byte Folded Spill
	scratch_store_b32 off, v5, off offset:124
	scratch_store_b32 off, v3, off offset:128
	.loc	1 90 22 is_stmt 1               ; layer_norm_bwd.py:90:22
	s_and_saveexec_b32 s73, s72
	s_cbranch_execz .LBB0_67
; %bb.66:                               ;   in Loop: Header=BB0_3 Depth=1
	.loc	1 90 27 is_stmt 0               ; layer_norm_bwd.py:90:27
	s_wait_kmcnt 0x0
	v_add_co_u32 v3, s0, s8, v63
	s_wait_alu depctr_va_sdst(0)
	v_add_co_ci_u32_e64 v4, null, s9, v64, s0
	.loc	1 90 22                         ; layer_norm_bwd.py:90:22
	global_load_b32 v3, v[3:4], off
	s_wait_loadcnt 0x0
	scratch_store_b32 off, v3, off offset:128 ; 4-byte Folded Spill
.LBB0_67:                               ;   in Loop: Header=BB0_3 Depth=1
	.loc	1 0 22                          ; layer_norm_bwd.py:0:22
	s_or_b32 exec_lo, exec_lo, s73
	v_add_nc_u32_e32 v3, s15, v1
	.loc	1 87 19 is_stmt 1               ; layer_norm_bwd.py:87:19
	s_add_co_i32 s0, s41, 32
	.loc	1 88 32                         ; layer_norm_bwd.py:88:32
	s_wait_alu depctr_sa_sdst(0)
	s_cmp_lt_i32 s0, s2
	s_cselect_b32 s0, -1, 0
	.loc	1 90 27                         ; layer_norm_bwd.py:90:27
	v_ashrrev_i32_e32 v4, 31, v3
	.loc	1 88 38                         ; layer_norm_bwd.py:88:38
	s_wait_alu depctr_sa_sdst(0)
	s_and_b32 s73, vcc_lo, s0
	s_delay_alu instid0(VALU_DEP_1)
	v_lshlrev_b64_e32 v[65:66], 2, v[3:4]
	.loc	1 90 22                         ; layer_norm_bwd.py:90:22
	s_and_saveexec_b32 s74, s73
	s_cbranch_execz .LBB0_69
; %bb.68:                               ;   in Loop: Header=BB0_3 Depth=1
	.loc	1 90 27 is_stmt 0               ; layer_norm_bwd.py:90:27
	s_wait_kmcnt 0x0
	s_delay_alu instid0(VALU_DEP_1)
	v_add_co_u32 v3, s0, s8, v65
	s_wait_alu depctr_va_sdst(0)
	v_add_co_ci_u32_e64 v4, null, s9, v66, s0
	.loc	1 90 22                         ; layer_norm_bwd.py:90:22
	global_load_b32 v3, v[3:4], off
	s_wait_loadcnt 0x0
	scratch_store_b32 off, v3, off offset:124 ; 4-byte Folded Spill
.LBB0_69:                               ;   in Loop: Header=BB0_3 Depth=1
	.loc	1 0 22                          ; layer_norm_bwd.py:0:22
	s_or_b32 exec_lo, exec_lo, s74
	s_mul_i32 s0, s3, 33
	v_mov_b32_e32 v5, 0
	s_wait_alu depctr_sa_sdst(0)
	v_add_nc_u32_e32 v3, s0, v1
	.loc	1 87 19 is_stmt 1               ; layer_norm_bwd.py:87:19
	s_add_co_i32 s0, s41, 33
	.loc	1 88 32                         ; layer_norm_bwd.py:88:32
	s_wait_alu depctr_sa_sdst(0)
	s_cmp_lt_i32 s0, s2
	s_cselect_b32 s0, -1, 0
	.loc	1 90 27                         ; layer_norm_bwd.py:90:27
	v_ashrrev_i32_e32 v4, 31, v3
	.loc	1 88 38                         ; layer_norm_bwd.py:88:38
	s_wait_alu depctr_sa_sdst(0)
	s_and_b32 s74, vcc_lo, s0
	s_delay_alu instid0(VALU_DEP_1)
	v_lshlrev_b64_e32 v[67:68], 2, v[3:4]
	v_mov_b32_e32 v3, 0
	.loc	1 88 32 is_stmt 0               ; layer_norm_bwd.py:88:32
	s_clause 0x1                            ; 8-byte Folded Spill
	scratch_store_b32 off, v5, off offset:132
	scratch_store_b32 off, v3, off offset:136
	.loc	1 90 22 is_stmt 1               ; layer_norm_bwd.py:90:22
	s_and_saveexec_b32 s75, s74
	s_cbranch_execz .LBB0_71
; %bb.70:                               ;   in Loop: Header=BB0_3 Depth=1
	.loc	1 90 27 is_stmt 0               ; layer_norm_bwd.py:90:27
	s_wait_kmcnt 0x0
	v_add_co_u32 v3, s0, s8, v67
	s_wait_alu depctr_va_sdst(0)
	v_add_co_ci_u32_e64 v4, null, s9, v68, s0
	.loc	1 90 22                         ; layer_norm_bwd.py:90:22
	global_load_b32 v3, v[3:4], off
	s_wait_loadcnt 0x0
	scratch_store_b32 off, v3, off offset:136 ; 4-byte Folded Spill
.LBB0_71:                               ;   in Loop: Header=BB0_3 Depth=1
	.loc	1 0 22                          ; layer_norm_bwd.py:0:22
	s_or_b32 exec_lo, exec_lo, s75
	s_mul_i32 s0, s3, 34
	s_wait_alu depctr_sa_sdst(0)
	v_add_nc_u32_e32 v3, s0, v1
	.loc	1 87 19 is_stmt 1               ; layer_norm_bwd.py:87:19
	s_add_co_i32 s0, s41, 34
	.loc	1 88 32                         ; layer_norm_bwd.py:88:32
	s_wait_alu depctr_sa_sdst(0)
	s_cmp_lt_i32 s0, s2
	s_cselect_b32 s0, -1, 0
	.loc	1 90 27                         ; layer_norm_bwd.py:90:27
	v_ashrrev_i32_e32 v4, 31, v3
	.loc	1 88 38                         ; layer_norm_bwd.py:88:38
	s_wait_alu depctr_sa_sdst(0)
	s_and_b32 s75, vcc_lo, s0
	s_delay_alu instid0(VALU_DEP_1)
	v_lshlrev_b64_e32 v[69:70], 2, v[3:4]
	.loc	1 90 22                         ; layer_norm_bwd.py:90:22
	s_and_saveexec_b32 s76, s75
	s_cbranch_execz .LBB0_73
; %bb.72:                               ;   in Loop: Header=BB0_3 Depth=1
	.loc	1 90 27 is_stmt 0               ; layer_norm_bwd.py:90:27
	s_wait_kmcnt 0x0
	s_delay_alu instid0(VALU_DEP_1)
	v_add_co_u32 v3, s0, s8, v69
	s_wait_alu depctr_va_sdst(0)
	v_add_co_ci_u32_e64 v4, null, s9, v70, s0
	.loc	1 90 22                         ; layer_norm_bwd.py:90:22
	global_load_b32 v3, v[3:4], off
	s_wait_loadcnt 0x0
	scratch_store_b32 off, v3, off offset:132 ; 4-byte Folded Spill
.LBB0_73:                               ;   in Loop: Header=BB0_3 Depth=1
	.loc	1 0 22                          ; layer_norm_bwd.py:0:22
	s_or_b32 exec_lo, exec_lo, s76
	s_mul_i32 s0, s3, 35
	v_mov_b32_e32 v5, 0
	s_wait_alu depctr_sa_sdst(0)
	v_add_nc_u32_e32 v3, s0, v1
	.loc	1 87 19 is_stmt 1               ; layer_norm_bwd.py:87:19
	s_add_co_i32 s0, s41, 35
	.loc	1 88 32                         ; layer_norm_bwd.py:88:32
	s_wait_alu depctr_sa_sdst(0)
	s_cmp_lt_i32 s0, s2
	s_cselect_b32 s0, -1, 0
	.loc	1 90 27                         ; layer_norm_bwd.py:90:27
	v_ashrrev_i32_e32 v4, 31, v3
	.loc	1 88 38                         ; layer_norm_bwd.py:88:38
	s_wait_alu depctr_sa_sdst(0)
	s_and_b32 s76, vcc_lo, s0
	s_delay_alu instid0(VALU_DEP_1)
	v_lshlrev_b64_e32 v[71:72], 2, v[3:4]
	v_mov_b32_e32 v3, 0
	.loc	1 88 32 is_stmt 0               ; layer_norm_bwd.py:88:32
	s_clause 0x1                            ; 8-byte Folded Spill
	scratch_store_b32 off, v5, off offset:140
	scratch_store_b32 off, v3, off offset:144
	.loc	1 90 22 is_stmt 1               ; layer_norm_bwd.py:90:22
	s_and_saveexec_b32 s77, s76
	s_cbranch_execz .LBB0_75
; %bb.74:                               ;   in Loop: Header=BB0_3 Depth=1
	.loc	1 90 27 is_stmt 0               ; layer_norm_bwd.py:90:27
	s_wait_kmcnt 0x0
	v_add_co_u32 v3, s0, s8, v71
	s_wait_alu depctr_va_sdst(0)
	v_add_co_ci_u32_e64 v4, null, s9, v72, s0
	.loc	1 90 22                         ; layer_norm_bwd.py:90:22
	global_load_b32 v3, v[3:4], off
	s_wait_loadcnt 0x0
	scratch_store_b32 off, v3, off offset:144 ; 4-byte Folded Spill
.LBB0_75:                               ;   in Loop: Header=BB0_3 Depth=1
	.loc	1 0 22                          ; layer_norm_bwd.py:0:22
	s_or_b32 exec_lo, exec_lo, s77
	s_mul_i32 s0, s3, 36
	s_wait_alu depctr_sa_sdst(0)
	v_add_nc_u32_e32 v3, s0, v1
	.loc	1 87 19 is_stmt 1               ; layer_norm_bwd.py:87:19
	s_add_co_i32 s0, s41, 36
	.loc	1 88 32                         ; layer_norm_bwd.py:88:32
	s_wait_alu depctr_sa_sdst(0)
	s_cmp_lt_i32 s0, s2
	s_cselect_b32 s0, -1, 0
	.loc	1 90 27                         ; layer_norm_bwd.py:90:27
	v_ashrrev_i32_e32 v4, 31, v3
	.loc	1 88 38                         ; layer_norm_bwd.py:88:38
	s_wait_alu depctr_sa_sdst(0)
	s_and_b32 s77, vcc_lo, s0
	s_delay_alu instid0(VALU_DEP_1)
	v_lshlrev_b64_e32 v[73:74], 2, v[3:4]
	.loc	1 90 22                         ; layer_norm_bwd.py:90:22
	s_and_saveexec_b32 s78, s77
	s_cbranch_execz .LBB0_77
; %bb.76:                               ;   in Loop: Header=BB0_3 Depth=1
	.loc	1 90 27 is_stmt 0               ; layer_norm_bwd.py:90:27
	s_wait_kmcnt 0x0
	s_delay_alu instid0(VALU_DEP_1)
	v_add_co_u32 v3, s0, s8, v73
	s_wait_alu depctr_va_sdst(0)
	v_add_co_ci_u32_e64 v4, null, s9, v74, s0
	.loc	1 90 22                         ; layer_norm_bwd.py:90:22
	global_load_b32 v3, v[3:4], off
	s_wait_loadcnt 0x0
	scratch_store_b32 off, v3, off offset:140 ; 4-byte Folded Spill
.LBB0_77:                               ;   in Loop: Header=BB0_3 Depth=1
	.loc	1 0 22                          ; layer_norm_bwd.py:0:22
	s_or_b32 exec_lo, exec_lo, s78
	s_mul_i32 s0, s3, 37
	v_mov_b32_e32 v5, 0
	s_wait_alu depctr_sa_sdst(0)
	v_add_nc_u32_e32 v3, s0, v1
	.loc	1 87 19 is_stmt 1               ; layer_norm_bwd.py:87:19
	s_add_co_i32 s0, s41, 37
	.loc	1 88 32                         ; layer_norm_bwd.py:88:32
	s_wait_alu depctr_sa_sdst(0)
	s_cmp_lt_i32 s0, s2
	s_cselect_b32 s0, -1, 0
	.loc	1 90 27                         ; layer_norm_bwd.py:90:27
	v_ashrrev_i32_e32 v4, 31, v3
	.loc	1 88 38                         ; layer_norm_bwd.py:88:38
	s_wait_alu depctr_sa_sdst(0)
	s_and_b32 s78, vcc_lo, s0
	s_delay_alu instid0(VALU_DEP_1)
	v_lshlrev_b64_e32 v[75:76], 2, v[3:4]
	v_mov_b32_e32 v3, 0
	.loc	1 88 32 is_stmt 0               ; layer_norm_bwd.py:88:32
	s_clause 0x1                            ; 8-byte Folded Spill
	scratch_store_b32 off, v5, off offset:148
	scratch_store_b32 off, v3, off offset:152
	.loc	1 90 22 is_stmt 1               ; layer_norm_bwd.py:90:22
	s_and_saveexec_b32 s79, s78
	s_cbranch_execz .LBB0_79
; %bb.78:                               ;   in Loop: Header=BB0_3 Depth=1
	.loc	1 90 27 is_stmt 0               ; layer_norm_bwd.py:90:27
	s_wait_kmcnt 0x0
	v_add_co_u32 v3, s0, s8, v75
	s_wait_alu depctr_va_sdst(0)
	v_add_co_ci_u32_e64 v4, null, s9, v76, s0
	.loc	1 90 22                         ; layer_norm_bwd.py:90:22
	global_load_b32 v3, v[3:4], off
	s_wait_loadcnt 0x0
	scratch_store_b32 off, v3, off offset:152 ; 4-byte Folded Spill
.LBB0_79:                               ;   in Loop: Header=BB0_3 Depth=1
	.loc	1 0 22                          ; layer_norm_bwd.py:0:22
	s_or_b32 exec_lo, exec_lo, s79
	s_mul_i32 s0, s3, 38
	s_wait_alu depctr_sa_sdst(0)
	v_add_nc_u32_e32 v3, s0, v1
	.loc	1 87 19 is_stmt 1               ; layer_norm_bwd.py:87:19
	s_add_co_i32 s0, s41, 38
	.loc	1 88 32                         ; layer_norm_bwd.py:88:32
	s_wait_alu depctr_sa_sdst(0)
	s_cmp_lt_i32 s0, s2
	s_cselect_b32 s0, -1, 0
	.loc	1 90 27                         ; layer_norm_bwd.py:90:27
	v_ashrrev_i32_e32 v4, 31, v3
	.loc	1 88 38                         ; layer_norm_bwd.py:88:38
	s_wait_alu depctr_sa_sdst(0)
	s_and_b32 s79, vcc_lo, s0
	s_delay_alu instid0(VALU_DEP_1)
	v_lshlrev_b64_e32 v[77:78], 2, v[3:4]
	.loc	1 90 22                         ; layer_norm_bwd.py:90:22
	s_and_saveexec_b32 s80, s79
	s_cbranch_execz .LBB0_81
; %bb.80:                               ;   in Loop: Header=BB0_3 Depth=1
	.loc	1 90 27 is_stmt 0               ; layer_norm_bwd.py:90:27
	s_wait_kmcnt 0x0
	s_delay_alu instid0(VALU_DEP_1)
	v_add_co_u32 v3, s0, s8, v77
	s_wait_alu depctr_va_sdst(0)
	v_add_co_ci_u32_e64 v4, null, s9, v78, s0
	.loc	1 90 22                         ; layer_norm_bwd.py:90:22
	global_load_b32 v3, v[3:4], off
	s_wait_loadcnt 0x0
	scratch_store_b32 off, v3, off offset:148 ; 4-byte Folded Spill
.LBB0_81:                               ;   in Loop: Header=BB0_3 Depth=1
	.loc	1 0 22                          ; layer_norm_bwd.py:0:22
	s_or_b32 exec_lo, exec_lo, s80
	s_mul_i32 s0, s3, 39
	v_mov_b32_e32 v5, 0
	s_wait_alu depctr_sa_sdst(0)
	v_add_nc_u32_e32 v3, s0, v1
	.loc	1 87 19 is_stmt 1               ; layer_norm_bwd.py:87:19
	s_add_co_i32 s0, s41, 39
	.loc	1 88 32                         ; layer_norm_bwd.py:88:32
	s_wait_alu depctr_sa_sdst(0)
	s_cmp_lt_i32 s0, s2
	s_cselect_b32 s0, -1, 0
	.loc	1 90 27                         ; layer_norm_bwd.py:90:27
	v_ashrrev_i32_e32 v4, 31, v3
	.loc	1 88 38                         ; layer_norm_bwd.py:88:38
	s_wait_alu depctr_sa_sdst(0)
	s_and_b32 s80, vcc_lo, s0
	s_delay_alu instid0(VALU_DEP_1)
	v_lshlrev_b64_e32 v[79:80], 2, v[3:4]
	v_mov_b32_e32 v3, 0
	.loc	1 88 32 is_stmt 0               ; layer_norm_bwd.py:88:32
	s_clause 0x1                            ; 8-byte Folded Spill
	scratch_store_b32 off, v5, off offset:156
	scratch_store_b32 off, v3, off offset:160
	.loc	1 90 22 is_stmt 1               ; layer_norm_bwd.py:90:22
	s_and_saveexec_b32 s81, s80
	s_cbranch_execz .LBB0_83
; %bb.82:                               ;   in Loop: Header=BB0_3 Depth=1
	.loc	1 90 27 is_stmt 0               ; layer_norm_bwd.py:90:27
	s_wait_kmcnt 0x0
	v_add_co_u32 v3, s0, s8, v79
	s_wait_alu depctr_va_sdst(0)
	v_add_co_ci_u32_e64 v4, null, s9, v80, s0
	.loc	1 90 22                         ; layer_norm_bwd.py:90:22
	global_load_b32 v3, v[3:4], off
	s_wait_loadcnt 0x0
	scratch_store_b32 off, v3, off offset:160 ; 4-byte Folded Spill
.LBB0_83:                               ;   in Loop: Header=BB0_3 Depth=1
	.loc	1 0 22                          ; layer_norm_bwd.py:0:22
	s_or_b32 exec_lo, exec_lo, s81
	s_mul_i32 s0, s3, 40
	s_wait_alu depctr_sa_sdst(0)
	v_add_nc_u32_e32 v3, s0, v1
	.loc	1 87 19 is_stmt 1               ; layer_norm_bwd.py:87:19
	s_add_co_i32 s0, s41, 40
	.loc	1 88 32                         ; layer_norm_bwd.py:88:32
	s_wait_alu depctr_sa_sdst(0)
	s_cmp_lt_i32 s0, s2
	s_cselect_b32 s0, -1, 0
	.loc	1 90 27                         ; layer_norm_bwd.py:90:27
	v_ashrrev_i32_e32 v4, 31, v3
	.loc	1 88 38                         ; layer_norm_bwd.py:88:38
	s_wait_alu depctr_sa_sdst(0)
	s_and_b32 s81, vcc_lo, s0
	s_delay_alu instid0(VALU_DEP_1)
	v_lshlrev_b64_e32 v[81:82], 2, v[3:4]
	.loc	1 90 22                         ; layer_norm_bwd.py:90:22
	s_and_saveexec_b32 s82, s81
	s_cbranch_execz .LBB0_85
; %bb.84:                               ;   in Loop: Header=BB0_3 Depth=1
	.loc	1 90 27 is_stmt 0               ; layer_norm_bwd.py:90:27
	s_wait_kmcnt 0x0
	s_delay_alu instid0(VALU_DEP_1)
	v_add_co_u32 v3, s0, s8, v81
	s_wait_alu depctr_va_sdst(0)
	v_add_co_ci_u32_e64 v4, null, s9, v82, s0
	.loc	1 90 22                         ; layer_norm_bwd.py:90:22
	global_load_b32 v3, v[3:4], off
	s_wait_loadcnt 0x0
	scratch_store_b32 off, v3, off offset:156 ; 4-byte Folded Spill
.LBB0_85:                               ;   in Loop: Header=BB0_3 Depth=1
	.loc	1 0 22                          ; layer_norm_bwd.py:0:22
	s_or_b32 exec_lo, exec_lo, s82
	v_add_nc_u32_e32 v3, s16, v1
	.loc	1 87 19 is_stmt 1               ; layer_norm_bwd.py:87:19
	s_add_co_i32 s0, s41, 41
	v_mov_b32_e32 v5, 0
	.loc	1 88 32                         ; layer_norm_bwd.py:88:32
	s_wait_alu depctr_sa_sdst(0)
	s_cmp_lt_i32 s0, s2
	s_cselect_b32 s0, -1, 0
	.loc	1 90 27                         ; layer_norm_bwd.py:90:27
	v_ashrrev_i32_e32 v4, 31, v3
	.loc	1 88 38                         ; layer_norm_bwd.py:88:38
	s_wait_alu depctr_sa_sdst(0)
	s_and_b32 s82, vcc_lo, s0
	s_delay_alu instid0(VALU_DEP_1)
	v_lshlrev_b64_e32 v[83:84], 2, v[3:4]
	v_mov_b32_e32 v3, 0
	.loc	1 88 32 is_stmt 0               ; layer_norm_bwd.py:88:32
	s_clause 0x1                            ; 8-byte Folded Spill
	scratch_store_b32 off, v5, off offset:164
	scratch_store_b32 off, v3, off offset:168
	.loc	1 90 22 is_stmt 1               ; layer_norm_bwd.py:90:22
	s_and_saveexec_b32 s83, s82
	s_cbranch_execz .LBB0_87
; %bb.86:                               ;   in Loop: Header=BB0_3 Depth=1
	.loc	1 90 27 is_stmt 0               ; layer_norm_bwd.py:90:27
	s_wait_kmcnt 0x0
	v_add_co_u32 v3, s0, s8, v83
	s_wait_alu depctr_va_sdst(0)
	v_add_co_ci_u32_e64 v4, null, s9, v84, s0
	.loc	1 90 22                         ; layer_norm_bwd.py:90:22
	global_load_b32 v3, v[3:4], off
	s_wait_loadcnt 0x0
	scratch_store_b32 off, v3, off offset:168 ; 4-byte Folded Spill
.LBB0_87:                               ;   in Loop: Header=BB0_3 Depth=1
	.loc	1 0 22                          ; layer_norm_bwd.py:0:22
	s_or_b32 exec_lo, exec_lo, s83
	v_add_nc_u32_e32 v3, s17, v1
	.loc	1 87 19 is_stmt 1               ; layer_norm_bwd.py:87:19
	s_add_co_i32 s0, s41, 42
	.loc	1 88 32                         ; layer_norm_bwd.py:88:32
	s_wait_alu depctr_sa_sdst(0)
	s_cmp_lt_i32 s0, s2
	s_cselect_b32 s0, -1, 0
	.loc	1 90 27                         ; layer_norm_bwd.py:90:27
	v_ashrrev_i32_e32 v4, 31, v3
	.loc	1 88 38                         ; layer_norm_bwd.py:88:38
	s_wait_alu depctr_sa_sdst(0)
	s_and_b32 s83, vcc_lo, s0
	s_delay_alu instid0(VALU_DEP_1)
	v_lshlrev_b64_e32 v[85:86], 2, v[3:4]
	.loc	1 90 22                         ; layer_norm_bwd.py:90:22
	s_and_saveexec_b32 s84, s83
	s_cbranch_execz .LBB0_89
; %bb.88:                               ;   in Loop: Header=BB0_3 Depth=1
	.loc	1 90 27 is_stmt 0               ; layer_norm_bwd.py:90:27
	s_wait_kmcnt 0x0
	s_delay_alu instid0(VALU_DEP_1)
	v_add_co_u32 v3, s0, s8, v85
	s_wait_alu depctr_va_sdst(0)
	v_add_co_ci_u32_e64 v4, null, s9, v86, s0
	.loc	1 90 22                         ; layer_norm_bwd.py:90:22
	global_load_b32 v3, v[3:4], off
	s_wait_loadcnt 0x0
	scratch_store_b32 off, v3, off offset:164 ; 4-byte Folded Spill
.LBB0_89:                               ;   in Loop: Header=BB0_3 Depth=1
	.loc	1 0 22                          ; layer_norm_bwd.py:0:22
	s_or_b32 exec_lo, exec_lo, s84
	v_add_nc_u32_e32 v3, s18, v1
	.loc	1 87 19 is_stmt 1               ; layer_norm_bwd.py:87:19
	s_add_co_i32 s0, s41, 43
	v_mov_b32_e32 v5, 0
	.loc	1 88 32                         ; layer_norm_bwd.py:88:32
	s_wait_alu depctr_sa_sdst(0)
	s_cmp_lt_i32 s0, s2
	s_cselect_b32 s0, -1, 0
	.loc	1 90 27                         ; layer_norm_bwd.py:90:27
	v_ashrrev_i32_e32 v4, 31, v3
	.loc	1 88 38                         ; layer_norm_bwd.py:88:38
	s_wait_alu depctr_sa_sdst(0)
	s_and_b32 s84, vcc_lo, s0
	s_delay_alu instid0(VALU_DEP_1)
	v_lshlrev_b64_e32 v[87:88], 2, v[3:4]
	v_mov_b32_e32 v3, 0
	.loc	1 88 32 is_stmt 0               ; layer_norm_bwd.py:88:32
	s_clause 0x1                            ; 8-byte Folded Spill
	scratch_store_b32 off, v5, off offset:172
	scratch_store_b32 off, v3, off offset:176
	.loc	1 90 22 is_stmt 1               ; layer_norm_bwd.py:90:22
	s_and_saveexec_b32 s85, s84
	s_cbranch_execz .LBB0_91
; %bb.90:                               ;   in Loop: Header=BB0_3 Depth=1
	.loc	1 90 27 is_stmt 0               ; layer_norm_bwd.py:90:27
	s_wait_kmcnt 0x0
	v_add_co_u32 v3, s0, s8, v87
	s_wait_alu depctr_va_sdst(0)
	v_add_co_ci_u32_e64 v4, null, s9, v88, s0
	.loc	1 90 22                         ; layer_norm_bwd.py:90:22
	global_load_b32 v3, v[3:4], off
	s_wait_loadcnt 0x0
	scratch_store_b32 off, v3, off offset:176 ; 4-byte Folded Spill
.LBB0_91:                               ;   in Loop: Header=BB0_3 Depth=1
	.loc	1 0 22                          ; layer_norm_bwd.py:0:22
	s_or_b32 exec_lo, exec_lo, s85
	v_add_nc_u32_e32 v3, s19, v1
	.loc	1 87 19 is_stmt 1               ; layer_norm_bwd.py:87:19
	s_add_co_i32 s0, s41, 44
	.loc	1 88 32                         ; layer_norm_bwd.py:88:32
	s_wait_alu depctr_sa_sdst(0)
	s_cmp_lt_i32 s0, s2
	s_cselect_b32 s0, -1, 0
	.loc	1 90 27                         ; layer_norm_bwd.py:90:27
	v_ashrrev_i32_e32 v4, 31, v3
	.loc	1 88 38                         ; layer_norm_bwd.py:88:38
	s_wait_alu depctr_sa_sdst(0)
	s_and_b32 s85, vcc_lo, s0
	s_delay_alu instid0(VALU_DEP_1)
	v_lshlrev_b64_e32 v[89:90], 2, v[3:4]
	.loc	1 90 22                         ; layer_norm_bwd.py:90:22
	s_and_saveexec_b32 s86, s85
	s_cbranch_execz .LBB0_93
; %bb.92:                               ;   in Loop: Header=BB0_3 Depth=1
	.loc	1 90 27 is_stmt 0               ; layer_norm_bwd.py:90:27
	s_wait_kmcnt 0x0
	s_delay_alu instid0(VALU_DEP_1)
	v_add_co_u32 v3, s0, s8, v89
	s_wait_alu depctr_va_sdst(0)
	v_add_co_ci_u32_e64 v4, null, s9, v90, s0
	.loc	1 90 22                         ; layer_norm_bwd.py:90:22
	global_load_b32 v3, v[3:4], off
	s_wait_loadcnt 0x0
	scratch_store_b32 off, v3, off offset:172 ; 4-byte Folded Spill
.LBB0_93:                               ;   in Loop: Header=BB0_3 Depth=1
	.loc	1 0 22                          ; layer_norm_bwd.py:0:22
	s_or_b32 exec_lo, exec_lo, s86
	v_add_nc_u32_e32 v3, s20, v1
	.loc	1 87 19 is_stmt 1               ; layer_norm_bwd.py:87:19
	s_add_co_i32 s0, s41, 45
	v_mov_b32_e32 v5, 0
	.loc	1 88 32                         ; layer_norm_bwd.py:88:32
	s_wait_alu depctr_sa_sdst(0)
	s_cmp_lt_i32 s0, s2
	s_cselect_b32 s0, -1, 0
	.loc	1 90 27                         ; layer_norm_bwd.py:90:27
	v_ashrrev_i32_e32 v4, 31, v3
	.loc	1 88 38                         ; layer_norm_bwd.py:88:38
	s_wait_alu depctr_sa_sdst(0)
	s_and_b32 s86, vcc_lo, s0
	s_delay_alu instid0(VALU_DEP_1)
	v_lshlrev_b64_e32 v[91:92], 2, v[3:4]
	v_mov_b32_e32 v3, 0
	.loc	1 88 32 is_stmt 0               ; layer_norm_bwd.py:88:32
	s_clause 0x1                            ; 8-byte Folded Spill
	scratch_store_b32 off, v5, off offset:180
	scratch_store_b32 off, v3, off offset:184
	.loc	1 90 22 is_stmt 1               ; layer_norm_bwd.py:90:22
	s_and_saveexec_b32 s87, s86
	s_cbranch_execz .LBB0_95
; %bb.94:                               ;   in Loop: Header=BB0_3 Depth=1
	.loc	1 90 27 is_stmt 0               ; layer_norm_bwd.py:90:27
	s_wait_kmcnt 0x0
	v_add_co_u32 v3, s0, s8, v91
	s_wait_alu depctr_va_sdst(0)
	v_add_co_ci_u32_e64 v4, null, s9, v92, s0
	.loc	1 90 22                         ; layer_norm_bwd.py:90:22
	global_load_b32 v3, v[3:4], off
	s_wait_loadcnt 0x0
	scratch_store_b32 off, v3, off offset:184 ; 4-byte Folded Spill
.LBB0_95:                               ;   in Loop: Header=BB0_3 Depth=1
	.loc	1 0 22                          ; layer_norm_bwd.py:0:22
	s_or_b32 exec_lo, exec_lo, s87
	v_add_nc_u32_e32 v3, s21, v1
	.loc	1 87 19 is_stmt 1               ; layer_norm_bwd.py:87:19
	s_add_co_i32 s0, s41, 46
	.loc	1 88 32                         ; layer_norm_bwd.py:88:32
	s_wait_alu depctr_sa_sdst(0)
	s_cmp_lt_i32 s0, s2
	s_cselect_b32 s0, -1, 0
	.loc	1 90 27                         ; layer_norm_bwd.py:90:27
	v_ashrrev_i32_e32 v4, 31, v3
	.loc	1 88 38                         ; layer_norm_bwd.py:88:38
	s_wait_alu depctr_sa_sdst(0)
	s_and_b32 s87, vcc_lo, s0
	s_delay_alu instid0(VALU_DEP_1)
	v_lshlrev_b64_e32 v[93:94], 2, v[3:4]
	.loc	1 90 22                         ; layer_norm_bwd.py:90:22
	s_and_saveexec_b32 s88, s87
	s_cbranch_execz .LBB0_97
; %bb.96:                               ;   in Loop: Header=BB0_3 Depth=1
	.loc	1 90 27 is_stmt 0               ; layer_norm_bwd.py:90:27
	s_wait_kmcnt 0x0
	s_delay_alu instid0(VALU_DEP_1)
	v_add_co_u32 v3, s0, s8, v93
	s_wait_alu depctr_va_sdst(0)
	v_add_co_ci_u32_e64 v4, null, s9, v94, s0
	.loc	1 90 22                         ; layer_norm_bwd.py:90:22
	global_load_b32 v3, v[3:4], off
	s_wait_loadcnt 0x0
	scratch_store_b32 off, v3, off offset:180 ; 4-byte Folded Spill
.LBB0_97:                               ;   in Loop: Header=BB0_3 Depth=1
	.loc	1 0 22                          ; layer_norm_bwd.py:0:22
	s_or_b32 exec_lo, exec_lo, s88
	v_add_nc_u32_e32 v3, s22, v1
	.loc	1 87 19 is_stmt 1               ; layer_norm_bwd.py:87:19
	s_add_co_i32 s0, s41, 47
	v_mov_b32_e32 v5, 0
	.loc	1 88 32                         ; layer_norm_bwd.py:88:32
	s_wait_alu depctr_sa_sdst(0)
	s_cmp_lt_i32 s0, s2
	s_cselect_b32 s0, -1, 0
	.loc	1 90 27                         ; layer_norm_bwd.py:90:27
	v_ashrrev_i32_e32 v4, 31, v3
	.loc	1 88 38                         ; layer_norm_bwd.py:88:38
	s_wait_alu depctr_sa_sdst(0)
	s_and_b32 s88, vcc_lo, s0
	s_delay_alu instid0(VALU_DEP_1)
	v_lshlrev_b64_e32 v[95:96], 2, v[3:4]
	v_mov_b32_e32 v3, 0
	.loc	1 88 32 is_stmt 0               ; layer_norm_bwd.py:88:32
	s_clause 0x1                            ; 8-byte Folded Spill
	scratch_store_b32 off, v5, off offset:188
	scratch_store_b32 off, v3, off offset:192
	.loc	1 90 22 is_stmt 1               ; layer_norm_bwd.py:90:22
	s_and_saveexec_b32 s89, s88
	s_cbranch_execz .LBB0_99
; %bb.98:                               ;   in Loop: Header=BB0_3 Depth=1
	.loc	1 90 27 is_stmt 0               ; layer_norm_bwd.py:90:27
	s_wait_kmcnt 0x0
	v_add_co_u32 v3, s0, s8, v95
	s_wait_alu depctr_va_sdst(0)
	v_add_co_ci_u32_e64 v4, null, s9, v96, s0
	.loc	1 90 22                         ; layer_norm_bwd.py:90:22
	global_load_b32 v3, v[3:4], off
	s_wait_loadcnt 0x0
	scratch_store_b32 off, v3, off offset:192 ; 4-byte Folded Spill
.LBB0_99:                               ;   in Loop: Header=BB0_3 Depth=1
	.loc	1 0 22                          ; layer_norm_bwd.py:0:22
	s_or_b32 exec_lo, exec_lo, s89
	v_add_nc_u32_e32 v3, s23, v1
	.loc	1 87 19 is_stmt 1               ; layer_norm_bwd.py:87:19
	s_add_co_i32 s0, s41, 48
	.loc	1 88 32                         ; layer_norm_bwd.py:88:32
	s_wait_alu depctr_sa_sdst(0)
	s_cmp_lt_i32 s0, s2
	s_cselect_b32 s0, -1, 0
	.loc	1 90 27                         ; layer_norm_bwd.py:90:27
	v_ashrrev_i32_e32 v4, 31, v3
	.loc	1 88 38                         ; layer_norm_bwd.py:88:38
	s_wait_alu depctr_sa_sdst(0)
	s_and_b32 s89, vcc_lo, s0
	s_delay_alu instid0(VALU_DEP_1)
	v_lshlrev_b64_e32 v[97:98], 2, v[3:4]
	.loc	1 90 22                         ; layer_norm_bwd.py:90:22
	s_and_saveexec_b32 s90, s89
	s_cbranch_execz .LBB0_101
; %bb.100:                              ;   in Loop: Header=BB0_3 Depth=1
	.loc	1 90 27 is_stmt 0               ; layer_norm_bwd.py:90:27
	s_wait_kmcnt 0x0
	s_delay_alu instid0(VALU_DEP_1)
	v_add_co_u32 v3, s0, s8, v97
	s_wait_alu depctr_va_sdst(0)
	v_add_co_ci_u32_e64 v4, null, s9, v98, s0
	.loc	1 90 22                         ; layer_norm_bwd.py:90:22
	global_load_b32 v3, v[3:4], off
	s_wait_loadcnt 0x0
	scratch_store_b32 off, v3, off offset:188 ; 4-byte Folded Spill
.LBB0_101:                              ;   in Loop: Header=BB0_3 Depth=1
	.loc	1 0 22                          ; layer_norm_bwd.py:0:22
	s_or_b32 exec_lo, exec_lo, s90
	v_add_nc_u32_e32 v3, s24, v1
	.loc	1 87 19 is_stmt 1               ; layer_norm_bwd.py:87:19
	s_add_co_i32 s0, s41, 49
	v_mov_b32_e32 v5, 0
	.loc	1 88 32                         ; layer_norm_bwd.py:88:32
	s_wait_alu depctr_sa_sdst(0)
	s_cmp_lt_i32 s0, s2
	s_cselect_b32 s0, -1, 0
	.loc	1 90 27                         ; layer_norm_bwd.py:90:27
	v_ashrrev_i32_e32 v4, 31, v3
	.loc	1 88 38                         ; layer_norm_bwd.py:88:38
	s_wait_alu depctr_sa_sdst(0)
	s_and_b32 s90, vcc_lo, s0
	s_delay_alu instid0(VALU_DEP_1)
	v_lshlrev_b64_e32 v[99:100], 2, v[3:4]
	v_mov_b32_e32 v3, 0
	.loc	1 88 32 is_stmt 0               ; layer_norm_bwd.py:88:32
	s_clause 0x1                            ; 8-byte Folded Spill
	scratch_store_b32 off, v5, off offset:196
	scratch_store_b32 off, v3, off offset:200
	.loc	1 90 22 is_stmt 1               ; layer_norm_bwd.py:90:22
	s_and_saveexec_b32 s91, s90
	s_cbranch_execz .LBB0_103
; %bb.102:                              ;   in Loop: Header=BB0_3 Depth=1
	.loc	1 90 27 is_stmt 0               ; layer_norm_bwd.py:90:27
	s_wait_kmcnt 0x0
	v_add_co_u32 v3, s0, s8, v99
	s_wait_alu depctr_va_sdst(0)
	v_add_co_ci_u32_e64 v4, null, s9, v100, s0
	.loc	1 90 22                         ; layer_norm_bwd.py:90:22
	global_load_b32 v3, v[3:4], off
	s_wait_loadcnt 0x0
	scratch_store_b32 off, v3, off offset:200 ; 4-byte Folded Spill
.LBB0_103:                              ;   in Loop: Header=BB0_3 Depth=1
	.loc	1 0 22                          ; layer_norm_bwd.py:0:22
	s_or_b32 exec_lo, exec_lo, s91
	v_add_nc_u32_e32 v3, s25, v1
	.loc	1 87 19 is_stmt 1               ; layer_norm_bwd.py:87:19
	s_add_co_i32 s0, s41, 50
	.loc	1 88 32                         ; layer_norm_bwd.py:88:32
	s_wait_alu depctr_sa_sdst(0)
	s_cmp_lt_i32 s0, s2
	s_cselect_b32 s0, -1, 0
	.loc	1 90 27                         ; layer_norm_bwd.py:90:27
	v_ashrrev_i32_e32 v4, 31, v3
	.loc	1 88 38                         ; layer_norm_bwd.py:88:38
	s_wait_alu depctr_sa_sdst(0)
	s_and_b32 s91, vcc_lo, s0
	s_delay_alu instid0(VALU_DEP_1)
	v_lshlrev_b64_e32 v[101:102], 2, v[3:4]
	.loc	1 90 22                         ; layer_norm_bwd.py:90:22
	s_and_saveexec_b32 s92, s91
	s_cbranch_execz .LBB0_105
; %bb.104:                              ;   in Loop: Header=BB0_3 Depth=1
	.loc	1 90 27 is_stmt 0               ; layer_norm_bwd.py:90:27
	s_wait_kmcnt 0x0
	s_delay_alu instid0(VALU_DEP_1)
	v_add_co_u32 v3, s0, s8, v101
	s_wait_alu depctr_va_sdst(0)
	v_add_co_ci_u32_e64 v4, null, s9, v102, s0
	.loc	1 90 22                         ; layer_norm_bwd.py:90:22
	global_load_b32 v3, v[3:4], off
	s_wait_loadcnt 0x0
	scratch_store_b32 off, v3, off offset:196 ; 4-byte Folded Spill
.LBB0_105:                              ;   in Loop: Header=BB0_3 Depth=1
	.loc	1 0 22                          ; layer_norm_bwd.py:0:22
	s_or_b32 exec_lo, exec_lo, s92
	v_dual_mov_b32 v6, 0 :: v_dual_add_nc_u32 v3, s26, v1
	.loc	1 87 19 is_stmt 1               ; layer_norm_bwd.py:87:19
	s_add_co_i32 s0, s41, 51
	v_mov_b32_e32 v5, 0
	.loc	1 88 32                         ; layer_norm_bwd.py:88:32
	s_wait_alu depctr_sa_sdst(0)
	s_cmp_lt_i32 s0, s2
	.loc	1 90 27                         ; layer_norm_bwd.py:90:27
	v_ashrrev_i32_e32 v4, 31, v3
	.loc	1 88 32                         ; layer_norm_bwd.py:88:32
	s_cselect_b32 s0, -1, 0
	.loc	1 88 38 is_stmt 0               ; layer_norm_bwd.py:88:38
	s_wait_alu depctr_sa_sdst(0)
	s_and_b32 s92, vcc_lo, s0
	scratch_store_b32 off, v5, off offset:204 ; 4-byte Folded Spill
	v_lshlrev_b64_e32 v[103:104], 2, v[3:4]
	.loc	1 90 22 is_stmt 1               ; layer_norm_bwd.py:90:22
	s_and_saveexec_b32 s93, s92
	s_cbranch_execz .LBB0_107
; %bb.106:                              ;   in Loop: Header=BB0_3 Depth=1
	.loc	1 90 27 is_stmt 0               ; layer_norm_bwd.py:90:27
	s_wait_kmcnt 0x0
	s_delay_alu instid0(VALU_DEP_1)
	v_add_co_u32 v3, s0, s8, v103
	s_wait_alu depctr_va_sdst(0)
	v_add_co_ci_u32_e64 v4, null, s9, v104, s0
	.loc	1 90 22                         ; layer_norm_bwd.py:90:22
	global_load_b32 v6, v[3:4], off
.LBB0_107:                              ;   in Loop: Header=BB0_3 Depth=1
	.loc	1 0 22                          ; layer_norm_bwd.py:0:22
	s_or_b32 exec_lo, exec_lo, s93
	v_add_nc_u32_e32 v3, s27, v1
	.loc	1 87 19 is_stmt 1               ; layer_norm_bwd.py:87:19
	s_add_co_i32 s0, s41, 52
	.loc	1 88 32                         ; layer_norm_bwd.py:88:32
	s_wait_alu depctr_sa_sdst(0)
	s_cmp_lt_i32 s0, s2
	s_cselect_b32 s0, -1, 0
	.loc	1 90 27                         ; layer_norm_bwd.py:90:27
	v_ashrrev_i32_e32 v4, 31, v3
	.loc	1 88 38                         ; layer_norm_bwd.py:88:38
	s_wait_alu depctr_sa_sdst(0)
	s_and_b32 s93, vcc_lo, s0
	s_delay_alu instid0(VALU_DEP_1)
	v_lshlrev_b64_e32 v[105:106], 2, v[3:4]
	.loc	1 90 22                         ; layer_norm_bwd.py:90:22
	s_and_saveexec_b32 s94, s93
	s_cbranch_execz .LBB0_109
; %bb.108:                              ;   in Loop: Header=BB0_3 Depth=1
	.loc	1 90 27 is_stmt 0               ; layer_norm_bwd.py:90:27
	s_wait_kmcnt 0x0
	s_delay_alu instid0(VALU_DEP_1)
	v_add_co_u32 v3, s0, s8, v105
	s_wait_alu depctr_va_sdst(0)
	v_add_co_ci_u32_e64 v4, null, s9, v106, s0
	.loc	1 90 22                         ; layer_norm_bwd.py:90:22
	global_load_b32 v3, v[3:4], off
	s_wait_loadcnt 0x0
	scratch_store_b32 off, v3, off offset:204 ; 4-byte Folded Spill
.LBB0_109:                              ;   in Loop: Header=BB0_3 Depth=1
	.loc	1 0 22                          ; layer_norm_bwd.py:0:22
	s_or_b32 exec_lo, exec_lo, s94
	v_dual_mov_b32 v8, 0 :: v_dual_add_nc_u32 v3, s28, v1
	.loc	1 87 19 is_stmt 1               ; layer_norm_bwd.py:87:19
	s_add_co_i32 s0, s41, 53
	v_mov_b32_e32 v7, 0
	.loc	1 88 32                         ; layer_norm_bwd.py:88:32
	s_wait_alu depctr_sa_sdst(0)
	s_cmp_lt_i32 s0, s2
	.loc	1 90 27                         ; layer_norm_bwd.py:90:27
	v_ashrrev_i32_e32 v4, 31, v3
	.loc	1 88 32                         ; layer_norm_bwd.py:88:32
	s_cselect_b32 s0, -1, 0
	.loc	1 88 38 is_stmt 0               ; layer_norm_bwd.py:88:38
	s_wait_alu depctr_sa_sdst(0)
	s_and_b32 s94, vcc_lo, s0
	s_delay_alu instid0(VALU_DEP_1)
	v_lshlrev_b64_e32 v[107:108], 2, v[3:4]
	.loc	1 90 22 is_stmt 1               ; layer_norm_bwd.py:90:22
	s_and_saveexec_b32 s95, s94
	s_cbranch_execz .LBB0_111
; %bb.110:                              ;   in Loop: Header=BB0_3 Depth=1
	.loc	1 90 27 is_stmt 0               ; layer_norm_bwd.py:90:27
	s_wait_kmcnt 0x0
	s_delay_alu instid0(VALU_DEP_1)
	v_add_co_u32 v3, s0, s8, v107
	s_wait_alu depctr_va_sdst(0)
	v_add_co_ci_u32_e64 v4, null, s9, v108, s0
	.loc	1 90 22                         ; layer_norm_bwd.py:90:22
	global_load_b32 v8, v[3:4], off
.LBB0_111:                              ;   in Loop: Header=BB0_3 Depth=1
	.loc	1 0 22                          ; layer_norm_bwd.py:0:22
	s_or_b32 exec_lo, exec_lo, s95
	v_add_nc_u32_e32 v3, s29, v1
	.loc	1 87 19 is_stmt 1               ; layer_norm_bwd.py:87:19
	s_add_co_i32 s0, s41, 54
	.loc	1 88 32                         ; layer_norm_bwd.py:88:32
	s_wait_alu depctr_sa_sdst(0)
	s_cmp_lt_i32 s0, s2
	s_cselect_b32 s0, -1, 0
	.loc	1 90 27                         ; layer_norm_bwd.py:90:27
	v_ashrrev_i32_e32 v4, 31, v3
	.loc	1 88 38                         ; layer_norm_bwd.py:88:38
	s_wait_alu depctr_sa_sdst(0)
	s_and_b32 s95, vcc_lo, s0
	s_delay_alu instid0(VALU_DEP_1)
	v_lshlrev_b64_e32 v[109:110], 2, v[3:4]
	.loc	1 90 22                         ; layer_norm_bwd.py:90:22
	s_and_saveexec_b32 s96, s95
	s_cbranch_execz .LBB0_113
; %bb.112:                              ;   in Loop: Header=BB0_3 Depth=1
	.loc	1 90 27 is_stmt 0               ; layer_norm_bwd.py:90:27
	s_wait_kmcnt 0x0
	s_delay_alu instid0(VALU_DEP_1)
	v_add_co_u32 v3, s0, s8, v109
	s_wait_alu depctr_va_sdst(0)
	v_add_co_ci_u32_e64 v4, null, s9, v110, s0
	.loc	1 90 22                         ; layer_norm_bwd.py:90:22
	global_load_b32 v7, v[3:4], off
.LBB0_113:                              ;   in Loop: Header=BB0_3 Depth=1
	.loc	1 0 22                          ; layer_norm_bwd.py:0:22
	s_or_b32 exec_lo, exec_lo, s96
	v_dual_mov_b32 v10, 0 :: v_dual_add_nc_u32 v3, s30, v1
	.loc	1 87 19 is_stmt 1               ; layer_norm_bwd.py:87:19
	s_add_co_i32 s0, s41, 55
	v_mov_b32_e32 v9, 0
	.loc	1 88 32                         ; layer_norm_bwd.py:88:32
	s_wait_alu depctr_sa_sdst(0)
	s_cmp_lt_i32 s0, s2
	.loc	1 90 27                         ; layer_norm_bwd.py:90:27
	v_ashrrev_i32_e32 v4, 31, v3
	.loc	1 88 32                         ; layer_norm_bwd.py:88:32
	s_cselect_b32 s0, -1, 0
	.loc	1 88 38 is_stmt 0               ; layer_norm_bwd.py:88:38
	s_wait_alu depctr_sa_sdst(0)
	s_and_b32 s96, vcc_lo, s0
	s_delay_alu instid0(VALU_DEP_1)
	v_lshlrev_b64_e32 v[111:112], 2, v[3:4]
	.loc	1 90 22 is_stmt 1               ; layer_norm_bwd.py:90:22
	s_and_saveexec_b32 s97, s96
	s_cbranch_execz .LBB0_115
; %bb.114:                              ;   in Loop: Header=BB0_3 Depth=1
	.loc	1 90 27 is_stmt 0               ; layer_norm_bwd.py:90:27
	s_wait_kmcnt 0x0
	s_delay_alu instid0(VALU_DEP_1)
	v_add_co_u32 v3, s0, s8, v111
	s_wait_alu depctr_va_sdst(0)
	v_add_co_ci_u32_e64 v4, null, s9, v112, s0
	.loc	1 90 22                         ; layer_norm_bwd.py:90:22
	global_load_b32 v10, v[3:4], off
.LBB0_115:                              ;   in Loop: Header=BB0_3 Depth=1
	.loc	1 0 22                          ; layer_norm_bwd.py:0:22
	s_or_b32 exec_lo, exec_lo, s97
	v_add_nc_u32_e32 v3, s31, v1
	.loc	1 87 19 is_stmt 1               ; layer_norm_bwd.py:87:19
	s_add_co_i32 s0, s41, 56
	.loc	1 88 32                         ; layer_norm_bwd.py:88:32
	s_wait_alu depctr_sa_sdst(0)
	s_cmp_lt_i32 s0, s2
	s_cselect_b32 s0, -1, 0
	.loc	1 90 27                         ; layer_norm_bwd.py:90:27
	v_ashrrev_i32_e32 v4, 31, v3
	.loc	1 88 38                         ; layer_norm_bwd.py:88:38
	s_wait_alu depctr_sa_sdst(0)
	s_and_b32 s97, vcc_lo, s0
	s_delay_alu instid0(VALU_DEP_1)
	v_lshlrev_b64_e32 v[113:114], 2, v[3:4]
	.loc	1 90 22                         ; layer_norm_bwd.py:90:22
	s_and_saveexec_b32 s98, s97
	s_cbranch_execz .LBB0_117
; %bb.116:                              ;   in Loop: Header=BB0_3 Depth=1
	.loc	1 90 27 is_stmt 0               ; layer_norm_bwd.py:90:27
	s_wait_kmcnt 0x0
	s_delay_alu instid0(VALU_DEP_1)
	v_add_co_u32 v3, s0, s8, v113
	s_wait_alu depctr_va_sdst(0)
	v_add_co_ci_u32_e64 v4, null, s9, v114, s0
	.loc	1 90 22                         ; layer_norm_bwd.py:90:22
	global_load_b32 v9, v[3:4], off
.LBB0_117:                              ;   in Loop: Header=BB0_3 Depth=1
	;; [unrolled: 60-line block ×3, first 2 shown]
	.loc	1 0 22                          ; layer_norm_bwd.py:0:22
	s_or_b32 exec_lo, exec_lo, s100
	v_dual_mov_b32 v3, 0 :: v_dual_add_nc_u32 v4, s35, v1
	.loc	1 87 19 is_stmt 1               ; layer_norm_bwd.py:87:19
	s_add_co_i32 s0, s41, 59
	.loc	1 88 32                         ; layer_norm_bwd.py:88:32
	s_wait_alu depctr_sa_sdst(0)
	s_cmp_lt_i32 s0, s2
	s_delay_alu instid0(VALU_DEP_1) | instskip(SKIP_3) | instid1(VALU_DEP_1)
	.loc	1 90 27                         ; layer_norm_bwd.py:90:27
	v_ashrrev_i32_e32 v5, 31, v4
	.loc	1 88 32                         ; layer_norm_bwd.py:88:32
	s_cselect_b32 s0, -1, 0
	.loc	1 88 38 is_stmt 0               ; layer_norm_bwd.py:88:38
	s_wait_alu depctr_sa_sdst(0)
	s_and_b32 s100, vcc_lo, s0
	v_lshlrev_b64_e32 v[119:120], 2, v[4:5]
	v_mov_b32_e32 v4, 0
	.loc	1 90 22 is_stmt 1               ; layer_norm_bwd.py:90:22
	s_and_saveexec_b32 s101, s100
	s_cbranch_execz .LBB0_123
; %bb.122:                              ;   in Loop: Header=BB0_3 Depth=1
	.loc	1 90 27 is_stmt 0               ; layer_norm_bwd.py:90:27
	s_wait_kmcnt 0x0
	s_delay_alu instid0(VALU_DEP_2)
	v_add_co_u32 v4, s0, s8, v119
	s_wait_alu depctr_va_sdst(0)
	v_add_co_ci_u32_e64 v5, null, s9, v120, s0
	.loc	1 90 22                         ; layer_norm_bwd.py:90:22
	global_load_b32 v4, v[4:5], off
.LBB0_123:                              ;   in Loop: Header=BB0_3 Depth=1
	.loc	1 0 22                          ; layer_norm_bwd.py:0:22
	s_or_b32 exec_lo, exec_lo, s101
	v_add_nc_u32_e32 v13, s36, v1
	.loc	1 87 19 is_stmt 1               ; layer_norm_bwd.py:87:19
	s_add_co_i32 s0, s41, 60
	.loc	1 88 32                         ; layer_norm_bwd.py:88:32
	s_wait_alu depctr_sa_sdst(0)
	s_cmp_lt_i32 s0, s2
	s_cselect_b32 s0, -1, 0
	.loc	1 90 27                         ; layer_norm_bwd.py:90:27
	v_ashrrev_i32_e32 v14, 31, v13
	.loc	1 88 38                         ; layer_norm_bwd.py:88:38
	s_wait_alu depctr_sa_sdst(0)
	s_and_b32 s101, vcc_lo, s0
	s_delay_alu instid0(VALU_DEP_1)
	v_lshlrev_b64_e32 v[121:122], 2, v[13:14]
	.loc	1 90 22                         ; layer_norm_bwd.py:90:22
	s_and_saveexec_b32 s102, s101
	s_cbranch_execz .LBB0_125
; %bb.124:                              ;   in Loop: Header=BB0_3 Depth=1
	.loc	1 90 27 is_stmt 0               ; layer_norm_bwd.py:90:27
	s_wait_kmcnt 0x0
	s_delay_alu instid0(VALU_DEP_1)
	v_add_co_u32 v13, s0, s8, v121
	s_wait_alu depctr_va_sdst(0)
	v_add_co_ci_u32_e64 v14, null, s9, v122, s0
	.loc	1 90 22                         ; layer_norm_bwd.py:90:22
	global_load_b32 v3, v[13:14], off
.LBB0_125:                              ;   in Loop: Header=BB0_3 Depth=1
	.loc	1 0 22                          ; layer_norm_bwd.py:0:22
	s_or_b32 exec_lo, exec_lo, s102
	v_dual_mov_b32 v13, 0 :: v_dual_add_nc_u32 v14, s37, v1
	.loc	1 87 19 is_stmt 1               ; layer_norm_bwd.py:87:19
	s_add_co_i32 s0, s41, 61
	.loc	1 88 32                         ; layer_norm_bwd.py:88:32
	s_wait_alu depctr_sa_sdst(0)
	s_cmp_lt_i32 s0, s2
	s_delay_alu instid0(VALU_DEP_1) | instskip(SKIP_3) | instid1(VALU_DEP_1)
	.loc	1 90 27                         ; layer_norm_bwd.py:90:27
	v_ashrrev_i32_e32 v15, 31, v14
	.loc	1 88 32                         ; layer_norm_bwd.py:88:32
	s_cselect_b32 s0, -1, 0
	.loc	1 88 38 is_stmt 0               ; layer_norm_bwd.py:88:38
	s_wait_alu depctr_sa_sdst(0)
	s_and_b32 s102, vcc_lo, s0
	v_lshlrev_b64_e32 v[123:124], 2, v[14:15]
	v_mov_b32_e32 v14, 0
	.loc	1 90 22 is_stmt 1               ; layer_norm_bwd.py:90:22
	s_and_saveexec_b32 s103, s102
	s_cbranch_execz .LBB0_127
; %bb.126:                              ;   in Loop: Header=BB0_3 Depth=1
	.loc	1 90 27 is_stmt 0               ; layer_norm_bwd.py:90:27
	s_wait_kmcnt 0x0
	s_delay_alu instid0(VALU_DEP_2)
	v_add_co_u32 v14, s0, s8, v123
	s_wait_alu depctr_va_sdst(0)
	v_add_co_ci_u32_e64 v15, null, s9, v124, s0
	.loc	1 90 22                         ; layer_norm_bwd.py:90:22
	global_load_b32 v14, v[14:15], off
.LBB0_127:                              ;   in Loop: Header=BB0_3 Depth=1
	.loc	1 0 22                          ; layer_norm_bwd.py:0:22
	s_or_b32 exec_lo, exec_lo, s103
	v_add_nc_u32_e32 v15, s38, v1
	.loc	1 87 19 is_stmt 1               ; layer_norm_bwd.py:87:19
	s_add_co_i32 s0, s41, 62
	.loc	1 88 32                         ; layer_norm_bwd.py:88:32
	s_wait_alu depctr_sa_sdst(0)
	s_cmp_lt_i32 s0, s2
	s_cselect_b32 s0, -1, 0
	.loc	1 90 27                         ; layer_norm_bwd.py:90:27
	v_ashrrev_i32_e32 v16, 31, v15
	.loc	1 88 38                         ; layer_norm_bwd.py:88:38
	s_wait_alu depctr_sa_sdst(0)
	s_and_b32 s103, vcc_lo, s0
	s_delay_alu instid0(VALU_DEP_1)
	v_lshlrev_b64_e32 v[125:126], 2, v[15:16]
	.loc	1 90 22                         ; layer_norm_bwd.py:90:22
	s_and_saveexec_b32 s104, s103
	s_cbranch_execz .LBB0_129
; %bb.128:                              ;   in Loop: Header=BB0_3 Depth=1
	.loc	1 90 27 is_stmt 0               ; layer_norm_bwd.py:90:27
	s_wait_kmcnt 0x0
	s_delay_alu instid0(VALU_DEP_1)
	v_add_co_u32 v15, s0, s8, v125
	s_wait_alu depctr_va_sdst(0)
	v_add_co_ci_u32_e64 v16, null, s9, v126, s0
	.loc	1 90 22                         ; layer_norm_bwd.py:90:22
	global_load_b32 v13, v[15:16], off
.LBB0_129:                              ;   in Loop: Header=BB0_3 Depth=1
	.loc	1 0 22                          ; layer_norm_bwd.py:0:22
	s_or_b32 exec_lo, exec_lo, s104
	v_dual_mov_b32 v16, 0 :: v_dual_add_nc_u32 v17, s39, v1
	.loc	1 88 32 is_stmt 1               ; layer_norm_bwd.py:88:32
	s_add_co_i32 s0, s41, 63
	v_mov_b32_e32 v15, 0
	s_wait_alu depctr_sa_sdst(0)
	s_cmp_lt_i32 s0, s2
	.loc	1 90 27                         ; layer_norm_bwd.py:90:27
	v_ashrrev_i32_e32 v18, 31, v17
	.loc	1 88 32                         ; layer_norm_bwd.py:88:32
	s_cselect_b32 s0, -1, 0
	.loc	1 88 38 is_stmt 0               ; layer_norm_bwd.py:88:38
	s_wait_alu depctr_sa_sdst(0)
	s_and_b32 s104, vcc_lo, s0
	s_delay_alu instid0(VALU_DEP_1)
	v_lshlrev_b64_e32 v[127:128], 2, v[17:18]
	.loc	1 90 22 is_stmt 1               ; layer_norm_bwd.py:90:22
	s_and_saveexec_b32 vcc_hi, s104
	s_cbranch_execz .LBB0_131
; %bb.130:                              ;   in Loop: Header=BB0_3 Depth=1
	.loc	1 90 27 is_stmt 0               ; layer_norm_bwd.py:90:27
	s_wait_kmcnt 0x0
	s_delay_alu instid0(VALU_DEP_1)
	v_add_co_u32 v17, s0, s8, v127
	s_wait_alu depctr_va_sdst(0)
	v_add_co_ci_u32_e64 v18, null, s9, v128, s0
	.loc	1 90 22                         ; layer_norm_bwd.py:90:22
	global_load_b32 v15, v[17:18], off
.LBB0_131:                              ;   in Loop: Header=BB0_3 Depth=1
	.loc	1 0 22                          ; layer_norm_bwd.py:0:22
	s_or_b32 exec_lo, exec_lo, vcc_hi
	.loc	1 91 22 is_stmt 1               ; layer_norm_bwd.py:91:22
	s_and_saveexec_b32 vcc_hi, vcc_lo
	s_cbranch_execz .LBB0_133
; %bb.132:                              ;   in Loop: Header=BB0_3 Depth=1
	.loc	1 0 22 is_stmt 0                ; layer_norm_bwd.py:0:22
	v_lshlrev_b64_e32 v[16:17], 2, v[1:2]
	s_wait_kmcnt 0x0
	s_delay_alu instid0(VALU_DEP_1) | instskip(SKIP_1) | instid1(VALU_DEP_2)
	v_add_co_u32 v16, s0, s10, v16
	s_wait_alu depctr_va_sdst(0)
	v_add_co_ci_u32_e64 v17, null, s11, v17, s0
	.loc	1 91 22                         ; layer_norm_bwd.py:91:22
	global_load_b32 v16, v[16:17], off
.LBB0_133:                              ;   in Loop: Header=BB0_3 Depth=1
	.loc	1 0 22                          ; layer_norm_bwd.py:0:22
	s_or_b32 exec_lo, exec_lo, vcc_hi
	v_dual_mov_b32 v2, 0 :: v_dual_mov_b32 v17, 0
	.loc	1 91 22                         ; layer_norm_bwd.py:91:22
	s_and_saveexec_b32 vcc_hi, s42
	s_cbranch_execz .LBB0_135
; %bb.134:                              ;   in Loop: Header=BB0_3 Depth=1
	.loc	1 91 27                         ; layer_norm_bwd.py:91:27
	s_wait_kmcnt 0x0
	v_add_co_u32 v17, s0, s10, v19
	s_wait_alu depctr_va_sdst(0)
	v_add_co_ci_u32_e64 v18, null, s11, v20, s0
	.loc	1 91 22                         ; layer_norm_bwd.py:91:22
	global_load_b32 v17, v[17:18], off
.LBB0_135:                              ;   in Loop: Header=BB0_3 Depth=1
	.loc	1 0 22                          ; layer_norm_bwd.py:0:22
	s_or_b32 exec_lo, exec_lo, vcc_hi
	.loc	1 91 22                         ; layer_norm_bwd.py:91:22
	s_and_saveexec_b32 s42, s43
	s_cbranch_execz .LBB0_137
; %bb.136:                              ;   in Loop: Header=BB0_3 Depth=1
	.loc	1 91 27                         ; layer_norm_bwd.py:91:27
	s_wait_kmcnt 0x0
	v_add_co_u32 v18, s0, s10, v21
	s_wait_alu depctr_va_sdst(0)
	v_add_co_ci_u32_e64 v19, null, s11, v22, s0
	.loc	1 91 22                         ; layer_norm_bwd.py:91:22
	global_load_b32 v2, v[18:19], off
.LBB0_137:                              ;   in Loop: Header=BB0_3 Depth=1
	.loc	1 0 22                          ; layer_norm_bwd.py:0:22
	s_or_b32 exec_lo, exec_lo, s42
	v_dual_mov_b32 v18, 0 :: v_dual_mov_b32 v19, 0
	.loc	1 91 22                         ; layer_norm_bwd.py:91:22
	s_and_saveexec_b32 s42, s44
	s_cbranch_execz .LBB0_139
; %bb.138:                              ;   in Loop: Header=BB0_3 Depth=1
	.loc	1 91 27                         ; layer_norm_bwd.py:91:27
	s_wait_kmcnt 0x0
	v_add_co_u32 v19, s0, s10, v129
	s_wait_alu depctr_va_sdst(0)
	v_add_co_ci_u32_e64 v20, null, s11, v130, s0
	.loc	1 91 22                         ; layer_norm_bwd.py:91:22
	global_load_b32 v19, v[19:20], off
.LBB0_139:                              ;   in Loop: Header=BB0_3 Depth=1
	.loc	1 0 22                          ; layer_norm_bwd.py:0:22
	s_or_b32 exec_lo, exec_lo, s42
	.loc	1 91 22                         ; layer_norm_bwd.py:91:22
	s_and_saveexec_b32 s42, s45
	s_cbranch_execz .LBB0_141
; %bb.140:                              ;   in Loop: Header=BB0_3 Depth=1
	.loc	1 91 27                         ; layer_norm_bwd.py:91:27
	s_wait_kmcnt 0x0
	v_add_co_u32 v20, s0, s10, v131
	s_wait_alu depctr_va_sdst(0)
	v_add_co_ci_u32_e64 v21, null, s11, v132, s0
	.loc	1 91 22                         ; layer_norm_bwd.py:91:22
	global_load_b32 v18, v[20:21], off
.LBB0_141:                              ;   in Loop: Header=BB0_3 Depth=1
	.loc	1 0 22                          ; layer_norm_bwd.py:0:22
	s_or_b32 exec_lo, exec_lo, s42
	v_dual_mov_b32 v20, 0 :: v_dual_mov_b32 v21, 0
	.loc	1 91 22                         ; layer_norm_bwd.py:91:22
	s_and_saveexec_b32 s42, s46
	s_cbranch_execz .LBB0_143
; %bb.142:                              ;   in Loop: Header=BB0_3 Depth=1
	.loc	1 0 22                          ; layer_norm_bwd.py:0:22
	scratch_load_b64 v[21:22], off, off offset:224 th:TH_LOAD_LU ; 8-byte Folded Reload
	.loc	1 91 27                         ; layer_norm_bwd.py:91:27
	s_wait_loadcnt 0x0
	s_wait_kmcnt 0x0
	v_add_co_u32 v21, s0, s10, v21
	s_wait_alu depctr_va_sdst(0)
	v_add_co_ci_u32_e64 v22, null, s11, v22, s0
	.loc	1 91 22                         ; layer_norm_bwd.py:91:22
	global_load_b32 v21, v[21:22], off
.LBB0_143:                              ;   in Loop: Header=BB0_3 Depth=1
	.loc	1 0 22                          ; layer_norm_bwd.py:0:22
	s_or_b32 exec_lo, exec_lo, s42
	.loc	1 91 22                         ; layer_norm_bwd.py:91:22
	s_and_saveexec_b32 s42, s47
	s_cbranch_execz .LBB0_145
; %bb.144:                              ;   in Loop: Header=BB0_3 Depth=1
	.loc	1 0 22                          ; layer_norm_bwd.py:0:22
	scratch_load_b64 v[129:130], off, off offset:232 th:TH_LOAD_LU ; 8-byte Folded Reload
	.loc	1 91 27                         ; layer_norm_bwd.py:91:27
	s_wait_loadcnt 0x0
	s_wait_kmcnt 0x0
	v_add_co_u32 v129, s0, s10, v129
	s_wait_alu depctr_va_sdst(0)
	v_add_co_ci_u32_e64 v130, null, s11, v130, s0
	.loc	1 91 22                         ; layer_norm_bwd.py:91:22
	global_load_b32 v20, v[129:130], off
.LBB0_145:                              ;   in Loop: Header=BB0_3 Depth=1
	.loc	1 0 22                          ; layer_norm_bwd.py:0:22
	s_or_b32 exec_lo, exec_lo, s42
	v_dual_mov_b32 v22, 0 :: v_dual_mov_b32 v5, 0
	.loc	1 91 22                         ; layer_norm_bwd.py:91:22
	s_and_saveexec_b32 s42, s48
	s_cbranch_execz .LBB0_147
; %bb.146:                              ;   in Loop: Header=BB0_3 Depth=1
	.loc	1 0 22                          ; layer_norm_bwd.py:0:22
	scratch_load_b64 v[129:130], off, off offset:240 th:TH_LOAD_LU ; 8-byte Folded Reload
	.loc	1 91 27                         ; layer_norm_bwd.py:91:27
	s_wait_loadcnt 0x0
	s_wait_kmcnt 0x0
	v_add_co_u32 v129, s0, s10, v129
	s_wait_alu depctr_va_sdst(0)
	v_add_co_ci_u32_e64 v130, null, s11, v130, s0
	.loc	1 91 22                         ; layer_norm_bwd.py:91:22
	global_load_b32 v5, v[129:130], off
.LBB0_147:                              ;   in Loop: Header=BB0_3 Depth=1
	.loc	1 0 22                          ; layer_norm_bwd.py:0:22
	s_or_b32 exec_lo, exec_lo, s42
	.loc	1 91 22                         ; layer_norm_bwd.py:91:22
	s_and_saveexec_b32 s42, s49
	s_cbranch_execz .LBB0_149
; %bb.148:                              ;   in Loop: Header=BB0_3 Depth=1
	.loc	1 0 22                          ; layer_norm_bwd.py:0:22
	scratch_load_b64 v[129:130], off, off offset:248 th:TH_LOAD_LU ; 8-byte Folded Reload
	.loc	1 91 27                         ; layer_norm_bwd.py:91:27
	s_wait_loadcnt 0x0
	s_wait_kmcnt 0x0
	v_add_co_u32 v129, s0, s10, v129
	s_wait_alu depctr_va_sdst(0)
	v_add_co_ci_u32_e64 v130, null, s11, v130, s0
	.loc	1 91 22                         ; layer_norm_bwd.py:91:22
	global_load_b32 v22, v[129:130], off
.LBB0_149:                              ;   in Loop: Header=BB0_3 Depth=1
	.loc	1 0 22                          ; layer_norm_bwd.py:0:22
	s_or_b32 exec_lo, exec_lo, s42
	v_dual_mov_b32 v129, 0 :: v_dual_mov_b32 v130, 0
	.loc	1 91 22                         ; layer_norm_bwd.py:91:22
	s_and_saveexec_b32 s42, s50
	s_cbranch_execz .LBB0_151
; %bb.150:                              ;   in Loop: Header=BB0_3 Depth=1
	.loc	1 0 22                          ; layer_norm_bwd.py:0:22
	scratch_load_b64 v[130:131], off, off offset:256 th:TH_LOAD_LU ; 8-byte Folded Reload
	.loc	1 91 27                         ; layer_norm_bwd.py:91:27
	s_wait_loadcnt 0x0
	s_wait_kmcnt 0x0
	v_add_co_u32 v130, s0, s10, v130
	s_wait_alu depctr_va_sdst(0)
	v_add_co_ci_u32_e64 v131, null, s11, v131, s0
	.loc	1 91 22                         ; layer_norm_bwd.py:91:22
	global_load_b32 v130, v[130:131], off
.LBB0_151:                              ;   in Loop: Header=BB0_3 Depth=1
	.loc	1 0 22                          ; layer_norm_bwd.py:0:22
	s_or_b32 exec_lo, exec_lo, s42
	.loc	1 91 22                         ; layer_norm_bwd.py:91:22
	s_and_saveexec_b32 s42, s51
	s_cbranch_execz .LBB0_153
; %bb.152:                              ;   in Loop: Header=BB0_3 Depth=1
	.loc	1 0 22                          ; layer_norm_bwd.py:0:22
	scratch_load_b64 v[131:132], off, off offset:264 th:TH_LOAD_LU ; 8-byte Folded Reload
	.loc	1 91 27                         ; layer_norm_bwd.py:91:27
	s_wait_loadcnt 0x0
	s_wait_kmcnt 0x0
	v_add_co_u32 v131, s0, s10, v131
	s_wait_alu depctr_va_sdst(0)
	v_add_co_ci_u32_e64 v132, null, s11, v132, s0
	.loc	1 91 22                         ; layer_norm_bwd.py:91:22
	global_load_b32 v129, v[131:132], off
.LBB0_153:                              ;   in Loop: Header=BB0_3 Depth=1
	.loc	1 0 22                          ; layer_norm_bwd.py:0:22
	s_or_b32 exec_lo, exec_lo, s42
	v_dual_mov_b32 v131, 0 :: v_dual_mov_b32 v132, 0
	.loc	1 91 22                         ; layer_norm_bwd.py:91:22
	s_and_saveexec_b32 s42, s52
	s_cbranch_execz .LBB0_155
; %bb.154:                              ;   in Loop: Header=BB0_3 Depth=1
	.loc	1 91 27                         ; layer_norm_bwd.py:91:27
	s_wait_kmcnt 0x0
	v_add_co_u32 v23, s0, s10, v23
	s_wait_alu depctr_va_sdst(0)
	v_add_co_ci_u32_e64 v24, null, s11, v24, s0
	.loc	1 91 22                         ; layer_norm_bwd.py:91:22
	global_load_b32 v132, v[23:24], off
.LBB0_155:                              ;   in Loop: Header=BB0_3 Depth=1
	.loc	1 0 22                          ; layer_norm_bwd.py:0:22
	s_or_b32 exec_lo, exec_lo, s42
	.loc	1 91 22                         ; layer_norm_bwd.py:91:22
	s_and_saveexec_b32 s42, s53
	s_cbranch_execz .LBB0_157
; %bb.156:                              ;   in Loop: Header=BB0_3 Depth=1
	.loc	1 91 27                         ; layer_norm_bwd.py:91:27
	s_wait_kmcnt 0x0
	v_add_co_u32 v23, s0, s10, v25
	s_wait_alu depctr_va_sdst(0)
	v_add_co_ci_u32_e64 v24, null, s11, v26, s0
	.loc	1 91 22                         ; layer_norm_bwd.py:91:22
	global_load_b32 v131, v[23:24], off
.LBB0_157:                              ;   in Loop: Header=BB0_3 Depth=1
	.loc	1 0 22                          ; layer_norm_bwd.py:0:22
	s_or_b32 exec_lo, exec_lo, s42
	v_dual_mov_b32 v23, 0 :: v_dual_mov_b32 v24, 0
	.loc	1 91 22                         ; layer_norm_bwd.py:91:22
	s_and_saveexec_b32 s42, s54
	s_cbranch_execz .LBB0_159
; %bb.158:                              ;   in Loop: Header=BB0_3 Depth=1
	.loc	1 91 27                         ; layer_norm_bwd.py:91:27
	s_wait_kmcnt 0x0
	v_add_co_u32 v24, s0, s10, v27
	s_wait_alu depctr_va_sdst(0)
	v_add_co_ci_u32_e64 v25, null, s11, v28, s0
	.loc	1 91 22                         ; layer_norm_bwd.py:91:22
	global_load_b32 v24, v[24:25], off
.LBB0_159:                              ;   in Loop: Header=BB0_3 Depth=1
	.loc	1 0 22                          ; layer_norm_bwd.py:0:22
	s_or_b32 exec_lo, exec_lo, s42
	.loc	1 91 22                         ; layer_norm_bwd.py:91:22
	s_and_saveexec_b32 s42, s55
	s_cbranch_execz .LBB0_161
; %bb.160:                              ;   in Loop: Header=BB0_3 Depth=1
	.loc	1 91 27                         ; layer_norm_bwd.py:91:27
	s_wait_kmcnt 0x0
	v_add_co_u32 v25, s0, s10, v29
	s_wait_alu depctr_va_sdst(0)
	v_add_co_ci_u32_e64 v26, null, s11, v30, s0
	.loc	1 91 22                         ; layer_norm_bwd.py:91:22
	global_load_b32 v23, v[25:26], off
.LBB0_161:                              ;   in Loop: Header=BB0_3 Depth=1
	;; [unrolled: 29-line block ×25, first 2 shown]
	.loc	1 0 22                          ; layer_norm_bwd.py:0:22
	s_or_b32 exec_lo, exec_lo, s42
	v_dual_mov_b32 v71, 0 :: v_dual_mov_b32 v72, 0
	.loc	1 91 22                         ; layer_norm_bwd.py:91:22
	s_and_saveexec_b32 s42, s102
	s_cbranch_execnz .LBB0_256
; %bb.254:                              ;   in Loop: Header=BB0_3 Depth=1
	.loc	1 0 22                          ; layer_norm_bwd.py:0:22
	s_or_b32 exec_lo, exec_lo, s42
	.loc	1 91 22                         ; layer_norm_bwd.py:91:22
	s_and_saveexec_b32 s42, s103
	s_cbranch_execnz .LBB0_257
.LBB0_255:                              ;   in Loop: Header=BB0_3 Depth=1
	.loc	1 0 22                          ; layer_norm_bwd.py:0:22
	s_or_b32 exec_lo, exec_lo, s42
	v_mov_b32_e32 v73, 0
	.loc	1 91 22                         ; layer_norm_bwd.py:91:22
	s_and_saveexec_b32 s42, s104
	s_cbranch_execz .LBB0_2
	s_branch .LBB0_258
.LBB0_256:                              ;   in Loop: Header=BB0_3 Depth=1
	.loc	1 91 27                         ; layer_norm_bwd.py:91:27
	s_wait_kmcnt 0x0
	v_add_co_u32 v72, s0, s10, v123
	s_wait_alu depctr_va_sdst(0)
	v_add_co_ci_u32_e64 v73, null, s11, v124, s0
	.loc	1 91 22                         ; layer_norm_bwd.py:91:22
	global_load_b32 v72, v[72:73], off
	s_or_b32 exec_lo, exec_lo, s42
	s_and_saveexec_b32 s42, s103
	s_cbranch_execz .LBB0_255
.LBB0_257:                              ;   in Loop: Header=BB0_3 Depth=1
	.loc	1 91 27                         ; layer_norm_bwd.py:91:27
	s_wait_kmcnt 0x0
	v_add_co_u32 v73, s0, s10, v125
	s_wait_alu depctr_va_sdst(0)
	v_add_co_ci_u32_e64 v74, null, s11, v126, s0
	.loc	1 91 22                         ; layer_norm_bwd.py:91:22
	global_load_b32 v71, v[73:74], off
	s_or_b32 exec_lo, exec_lo, s42
	v_mov_b32_e32 v73, 0
	s_and_saveexec_b32 s42, s104
	s_cbranch_execz .LBB0_2
.LBB0_258:                              ;   in Loop: Header=BB0_3 Depth=1
	.loc	1 91 27                         ; layer_norm_bwd.py:91:27
	s_wait_kmcnt 0x0
	v_add_co_u32 v73, s0, s10, v127
	s_wait_alu depctr_va_sdst(0)
	v_add_co_ci_u32_e64 v74, null, s11, v128, s0
	.loc	1 91 22                         ; layer_norm_bwd.py:91:22
	global_load_b32 v73, v[73:74], off
	s_branch .LBB0_2
.LBB0_259:                              ; %._crit_edge.loopexit
.Ltmp1:
	.file	2 "/root/.local/lib/python3.13/site-packages/triton/language" "standard.py"
	.loc	2 263 15 is_stmt 1              ; standard.py:263:15 @[ standard.py:293:36 @[ layer_norm_bwd.py:94:20 ] ]
	scratch_load_b32 v2, off, off offset:220 th:TH_LOAD_LU ; 4-byte Folded Reload
	v_add_f32_e32 v1, v190, v192
	s_delay_alu instid0(VALU_DEP_1) | instskip(NEXT) | instid1(VALU_DEP_1)
	v_add_f32_e32 v1, v191, v1
.Ltmp2:
	.loc	2 263 15 is_stmt 0              ; standard.py:263:15 @[ standard.py:293:36 @[ layer_norm_bwd.py:93:20 ] ]
	v_dual_add_f32 v0, v255, v0 :: v_dual_add_f32 v1, v189, v1
	s_delay_alu instid0(VALU_DEP_1) | instskip(NEXT) | instid1(VALU_DEP_1)
	v_dual_add_f32 v0, v254, v0 :: v_dual_add_f32 v1, v188, v1
	v_dual_add_f32 v0, v253, v0 :: v_dual_add_f32 v1, v187, v1
	s_delay_alu instid0(VALU_DEP_1) | instskip(NEXT) | instid1(VALU_DEP_1)
	v_dual_add_f32 v0, v252, v0 :: v_dual_add_f32 v1, v186, v1
	;; [unrolled: 3-line block ×28, first 2 shown]
	v_dual_add_f32 v0, v199, v0 :: v_dual_add_f32 v1, v133, v1
	s_delay_alu instid0(VALU_DEP_1) | instskip(SKIP_1) | instid1(VALU_DEP_1)
	v_add_f32_e32 v0, v198, v0
	s_wait_loadcnt 0x0
	v_dual_add_f32 v0, v197, v0 :: v_dual_add_f32 v1, v2, v1
.Ltmp3:
	.loc	2 263 15                        ; standard.py:263:15 @[ standard.py:293:36 @[ layer_norm_bwd.py:94:20 ] ]
	scratch_load_b32 v2, off, off offset:216 th:TH_LOAD_LU ; 4-byte Folded Reload
.Ltmp4:
	.loc	2 263 15                        ; standard.py:263:15 @[ standard.py:293:36 @[ layer_norm_bwd.py:93:20 ] ]
	s_wait_loadcnt 0x0
	v_dual_add_f32 v0, v196, v0 :: v_dual_add_f32 v1, v2, v1
.Ltmp5:
	.loc	2 263 15                        ; standard.py:263:15 @[ standard.py:293:36 @[ layer_norm_bwd.py:94:20 ] ]
	scratch_load_b32 v2, off, off offset:212 th:TH_LOAD_LU ; 4-byte Folded Reload
.Ltmp6:
	.loc	2 263 15                        ; standard.py:263:15 @[ standard.py:293:36 @[ layer_norm_bwd.py:93:20 ] ]
	v_add_f32_e32 v0, v195, v0
	s_delay_alu instid0(VALU_DEP_1) | instskip(SKIP_1) | instid1(VALU_DEP_1)
	v_add_f32_e32 v0, v194, v0
.Ltmp7:
	.loc	2 263 15                        ; standard.py:263:15 @[ standard.py:293:36 @[ layer_norm_bwd.py:94:20 ] ]
	s_wait_loadcnt 0x0
	v_dual_add_f32 v2, v2, v1 :: v_dual_add_f32 v1, v193, v0
	scratch_load_b32 v0, off, off offset:208 th:TH_LOAD_LU ; 4-byte Folded Reload
	s_wait_loadcnt 0x0
	v_add_f32_e32 v0, v0, v2
	scratch_load_b64 v[2:3], off, off offset:272 ; 8-byte Folded Reload
.Ltmp8:
	.loc	1 95 30 is_stmt 1               ; layer_norm_bwd.py:95:30
	s_and_saveexec_b32 s0, vcc_lo
	s_cbranch_execz .LBB0_261
.LBB0_260:
	.loc	1 95 24 is_stmt 0               ; layer_norm_bwd.py:95:24
	s_wait_loadcnt 0x0
	v_ashrrev_i32_e32 v3, 31, v2
	s_delay_alu instid0(VALU_DEP_1) | instskip(NEXT) | instid1(VALU_DEP_1)
	v_lshlrev_b64_e32 v[2:3], 2, v[2:3]
	v_add_co_u32 v4, vcc_lo, s4, v2
	s_delay_alu instid0(VALU_DEP_1)
	v_add_co_ci_u32_e64 v5, null, s5, v3, vcc_lo
	.loc	1 96 24 is_stmt 1               ; layer_norm_bwd.py:96:24
	v_add_co_u32 v2, vcc_lo, s6, v2
	s_wait_alu depctr_va_vcc(0)
	v_add_co_ci_u32_e64 v3, null, s7, v3, vcc_lo
	.loc	1 95 30                         ; layer_norm_bwd.py:95:30
	global_store_b32 v[4:5], v1, off
	.loc	1 96 30                         ; layer_norm_bwd.py:96:30
	global_store_b32 v[2:3], v0, off
.LBB0_261:                              ; %.critedge
	.loc	1 96 4                          ; layer_norm_bwd.py:96:4
	s_endpgm
.LBB0_262:
	.loc	1 0 4 is_stmt 0                 ; layer_norm_bwd.py:0:4
	v_dual_mov_b32 v0, 0 :: v_dual_mov_b32 v1, 0
	.loc	1 95 30 is_stmt 1               ; layer_norm_bwd.py:95:30
	s_and_saveexec_b32 s0, vcc_lo
	s_cbranch_execnz .LBB0_260
	s_branch .LBB0_261
.Ltmp9:
	.section	.rodata,"a",@progbits
	.p2align	6, 0x0
	.amdhsa_kernel _layer_norm_bwd_dwdb
		.amdhsa_group_segment_fixed_size 0
		.amdhsa_private_segment_fixed_size 284
		.amdhsa_kernarg_size 56
		.amdhsa_user_sgpr_count 2
		.amdhsa_user_sgpr_dispatch_ptr 0
		.amdhsa_user_sgpr_queue_ptr 0
		.amdhsa_user_sgpr_kernarg_segment_ptr 1
		.amdhsa_user_sgpr_dispatch_id 0
		.amdhsa_user_sgpr_private_segment_size 0
		.amdhsa_wavefront_size32 1
		.amdhsa_uses_dynamic_stack 0
		.amdhsa_enable_private_segment 1
		.amdhsa_system_sgpr_workgroup_id_x 1
		.amdhsa_system_sgpr_workgroup_id_y 1
		.amdhsa_system_sgpr_workgroup_id_z 1
		.amdhsa_system_sgpr_workgroup_info 0
		.amdhsa_system_vgpr_workitem_id 0
		.amdhsa_next_free_vgpr 256
		.amdhsa_next_free_sgpr 105
		.amdhsa_reserve_vcc 1
		.amdhsa_float_round_mode_32 0
		.amdhsa_float_round_mode_16_64 0
		.amdhsa_float_denorm_mode_32 3
		.amdhsa_float_denorm_mode_16_64 3
		.amdhsa_fp16_overflow 0
		.amdhsa_workgroup_processor_mode 1
		.amdhsa_memory_ordered 1
		.amdhsa_forward_progress 1
		.amdhsa_inst_pref_size 114
		.amdhsa_round_robin_scheduling 0
		.amdhsa_exception_fp_ieee_invalid_op 0
		.amdhsa_exception_fp_denorm_src 0
		.amdhsa_exception_fp_ieee_div_zero 0
		.amdhsa_exception_fp_ieee_overflow 0
		.amdhsa_exception_fp_ieee_underflow 0
		.amdhsa_exception_fp_ieee_inexact 0
		.amdhsa_exception_int_div_zero 0
	.end_amdhsa_kernel
	.text
.Lfunc_end0:
	.size	_layer_norm_bwd_dwdb, .Lfunc_end0-_layer_norm_bwd_dwdb
	.cfi_endproc
                                        ; -- End function
	.set _layer_norm_bwd_dwdb.num_vgpr, 256
	.set _layer_norm_bwd_dwdb.num_agpr, 0
	.set _layer_norm_bwd_dwdb.numbered_sgpr, 105
	.set _layer_norm_bwd_dwdb.num_named_barrier, 0
	.set _layer_norm_bwd_dwdb.private_seg_size, 284
	.set _layer_norm_bwd_dwdb.uses_vcc, 1
	.set _layer_norm_bwd_dwdb.uses_flat_scratch, 1
	.set _layer_norm_bwd_dwdb.has_dyn_sized_stack, 0
	.set _layer_norm_bwd_dwdb.has_recursion, 0
	.set _layer_norm_bwd_dwdb.has_indirect_call, 0
	.section	.AMDGPU.csdata,"",@progbits
; Kernel info:
; codeLenInByte = 14556
; TotalNumSgprs: 107
; NumVgprs: 256
; ScratchSize: 284
; MemoryBound: 0
; FloatMode: 240
; IeeeMode: 1
; LDSByteSize: 0 bytes/workgroup (compile time only)
; SGPRBlocks: 0
; VGPRBlocks: 31
; NumSGPRsForWavesPerEU: 107
; NumVGPRsForWavesPerEU: 256
; Occupancy: 5
; WaveLimiterHint : 0
; COMPUTE_PGM_RSRC2:SCRATCH_EN: 1
; COMPUTE_PGM_RSRC2:USER_SGPR: 2
; COMPUTE_PGM_RSRC2:TRAP_HANDLER: 0
; COMPUTE_PGM_RSRC2:TGID_X_EN: 1
; COMPUTE_PGM_RSRC2:TGID_Y_EN: 1
; COMPUTE_PGM_RSRC2:TGID_Z_EN: 1
; COMPUTE_PGM_RSRC2:TIDIG_COMP_CNT: 0
	.text
	.p2alignl 7, 3214868480
	.fill 96, 4, 3214868480
	.section	.AMDGPU.gpr_maximums,"",@progbits
	.set amdgpu.max_num_vgpr, 0
	.set amdgpu.max_num_agpr, 0
	.set amdgpu.max_num_sgpr, 0
	.set amdgpu.max_num_named_barrier, 0
	.text
	.section	.debug_abbrev,"",@progbits
	.byte	1                               ; Abbreviation Code
	.byte	17                              ; DW_TAG_compile_unit
	.byte	1                               ; DW_CHILDREN_yes
	.byte	37                              ; DW_AT_producer
	.byte	14                              ; DW_FORM_strp
	.byte	19                              ; DW_AT_language
	.byte	5                               ; DW_FORM_data2
	.byte	3                               ; DW_AT_name
	.byte	14                              ; DW_FORM_strp
	.byte	16                              ; DW_AT_stmt_list
	.byte	23                              ; DW_FORM_sec_offset
	.byte	27                              ; DW_AT_comp_dir
	.byte	14                              ; DW_FORM_strp
	.byte	17                              ; DW_AT_low_pc
	.byte	1                               ; DW_FORM_addr
	.byte	18                              ; DW_AT_high_pc
	.byte	6                               ; DW_FORM_data4
	.byte	0                               ; EOM(1)
	.byte	0                               ; EOM(2)
	.byte	2                               ; Abbreviation Code
	.byte	46                              ; DW_TAG_subprogram
	.byte	0                               ; DW_CHILDREN_no
	.byte	3                               ; DW_AT_name
	.byte	14                              ; DW_FORM_strp
	.byte	32                              ; DW_AT_inline
	.byte	11                              ; DW_FORM_data1
	.byte	0                               ; EOM(1)
	.byte	0                               ; EOM(2)
	.byte	3                               ; Abbreviation Code
	.byte	46                              ; DW_TAG_subprogram
	.byte	1                               ; DW_CHILDREN_yes
	.byte	17                              ; DW_AT_low_pc
	.byte	1                               ; DW_FORM_addr
	.byte	18                              ; DW_AT_high_pc
	.byte	6                               ; DW_FORM_data4
	.byte	49                              ; DW_AT_abstract_origin
	.byte	19                              ; DW_FORM_ref4
	.byte	0                               ; EOM(1)
	.byte	0                               ; EOM(2)
	.byte	4                               ; Abbreviation Code
	.byte	29                              ; DW_TAG_inlined_subroutine
	.byte	1                               ; DW_CHILDREN_yes
	.byte	49                              ; DW_AT_abstract_origin
	.byte	19                              ; DW_FORM_ref4
	.byte	85                              ; DW_AT_ranges
	.byte	23                              ; DW_FORM_sec_offset
	.byte	88                              ; DW_AT_call_file
	.byte	11                              ; DW_FORM_data1
	.byte	89                              ; DW_AT_call_line
	.byte	11                              ; DW_FORM_data1
	.byte	87                              ; DW_AT_call_column
	.byte	11                              ; DW_FORM_data1
	.byte	0                               ; EOM(1)
	.byte	0                               ; EOM(2)
	.byte	5                               ; Abbreviation Code
	.byte	29                              ; DW_TAG_inlined_subroutine
	.byte	0                               ; DW_CHILDREN_no
	.byte	49                              ; DW_AT_abstract_origin
	.byte	19                              ; DW_FORM_ref4
	.byte	85                              ; DW_AT_ranges
	.byte	23                              ; DW_FORM_sec_offset
	.byte	88                              ; DW_AT_call_file
	.byte	11                              ; DW_FORM_data1
	.byte	89                              ; DW_AT_call_line
	.byte	5                               ; DW_FORM_data2
	.byte	87                              ; DW_AT_call_column
	.byte	11                              ; DW_FORM_data1
	.byte	0                               ; EOM(1)
	.byte	0                               ; EOM(2)
	;; [unrolled: 1-line block ×3, first 2 shown]
	.section	.debug_info,"",@progbits
.Lcu_begin0:
	.long	.Ldebug_info_end0-.Ldebug_info_start0 ; Length of Unit
.Ldebug_info_start0:
	.short	4                               ; DWARF version number
	.long	.debug_abbrev                   ; Offset Into Abbrev. Section
	.byte	8                               ; Address Size (in bytes)
	.byte	1                               ; Abbrev [1] 0xb:0x6c DW_TAG_compile_unit
	.long	.Linfo_string0                  ; DW_AT_producer
	.short	2                               ; DW_AT_language
	.long	.Linfo_string1                  ; DW_AT_name
	.long	.Lline_table_start0             ; DW_AT_stmt_list
	.long	.Linfo_string2                  ; DW_AT_comp_dir
	.quad	.Lfunc_begin0                   ; DW_AT_low_pc
	.long	.Lfunc_end0-.Lfunc_begin0       ; DW_AT_high_pc
	.byte	2                               ; Abbrev [2] 0x2a:0x6 DW_TAG_subprogram
	.long	.Linfo_string3                  ; DW_AT_name
	.byte	1                               ; DW_AT_inline
	.byte	3                               ; Abbrev [3] 0x30:0x46 DW_TAG_subprogram
	.quad	.Lfunc_begin0                   ; DW_AT_low_pc
	.long	.Lfunc_end0-.Lfunc_begin0       ; DW_AT_high_pc
	.long	42                              ; DW_AT_abstract_origin
	.byte	4                               ; Abbrev [4] 0x41:0x1a DW_TAG_inlined_subroutine
	.long	42                              ; DW_AT_abstract_origin
	.long	.Ldebug_ranges0                 ; DW_AT_ranges
	.byte	1                               ; DW_AT_call_file
	.byte	94                              ; DW_AT_call_line
	.byte	20                              ; DW_AT_call_column
	.byte	5                               ; Abbrev [5] 0x4d:0xd DW_TAG_inlined_subroutine
	.long	42                              ; DW_AT_abstract_origin
	.long	.Ldebug_ranges0                 ; DW_AT_ranges
	.byte	2                               ; DW_AT_call_file
	.short	293                             ; DW_AT_call_line
	.byte	36                              ; DW_AT_call_column
	.byte	0                               ; End Of Children Mark
	.byte	4                               ; Abbrev [4] 0x5b:0x1a DW_TAG_inlined_subroutine
	.long	42                              ; DW_AT_abstract_origin
	.long	.Ldebug_ranges1                 ; DW_AT_ranges
	.byte	1                               ; DW_AT_call_file
	.byte	93                              ; DW_AT_call_line
	.byte	20                              ; DW_AT_call_column
	.byte	5                               ; Abbrev [5] 0x67:0xd DW_TAG_inlined_subroutine
	.long	42                              ; DW_AT_abstract_origin
	.long	.Ldebug_ranges1                 ; DW_AT_ranges
	.byte	2                               ; DW_AT_call_file
	.short	293                             ; DW_AT_call_line
	.byte	36                              ; DW_AT_call_column
	.byte	0                               ; End Of Children Mark
	.byte	0                               ; End Of Children Mark
	;; [unrolled: 1-line block ×3, first 2 shown]
.Ldebug_info_end0:
	.section	.debug_ranges,"",@progbits
.Ldebug_ranges0:
	.quad	.Ltmp1-.Lfunc_begin0
	.quad	.Ltmp2-.Lfunc_begin0
	;; [unrolled: 1-line block ×8, first 2 shown]
	.quad	0
	.quad	0
.Ldebug_ranges1:
	.quad	.Ltmp2-.Lfunc_begin0
	.quad	.Ltmp3-.Lfunc_begin0
	;; [unrolled: 1-line block ×6, first 2 shown]
	.quad	0
	.quad	0
	.section	.debug_str,"MS",@progbits,1
.Linfo_string0:
	.asciz	"triton"                        ; string offset=0
.Linfo_string1:
	.asciz	"layer_norm_bwd.py"             ; string offset=7
.Linfo_string2:
	.asciz	"/root/src/amdgpu-assembly/repos/triton-lang__triton-aot" ; string offset=25
.Linfo_string3:
	.asciz	"_layer_norm_bwd_dwdb"          ; string offset=81
	.section	".note.GNU-stack","",@progbits
	.amdgpu_metadata
---
amdhsa.kernels:
  - .args:
      - .address_space:  global
        .offset:         0
        .size:           8
        .value_kind:     global_buffer
      - .address_space:  global
        .offset:         8
        .size:           8
        .value_kind:     global_buffer
      - .address_space:  global
        .offset:         16
        .size:           8
        .value_kind:     global_buffer
      - .address_space:  global
        .offset:         24
        .size:           8
        .value_kind:     global_buffer
      - .offset:         32
        .size:           4
        .value_kind:     by_value
      - .offset:         36
        .size:           4
        .value_kind:     by_value
      - .address_space:  global
        .offset:         40
        .size:           8
        .value_kind:     global_buffer
      - .address_space:  global
        .offset:         48
        .size:           8
        .value_kind:     global_buffer
    .group_segment_fixed_size: 0
    .kernarg_segment_align: 8
    .kernarg_segment_size: 56
    .max_flat_workgroup_size: 256
    .name:           _layer_norm_bwd_dwdb
    .private_segment_fixed_size: 284
    .sgpr_count:     107
    .sgpr_spill_count: 0
    .symbol:         _layer_norm_bwd_dwdb.kd
    .uniform_work_group_size: 1
    .uses_dynamic_stack: false
    .vgpr_count:     256
    .vgpr_spill_count: 126
    .wavefront_size: 32
    .workgroup_processor_mode: 1
amdhsa.target:   amdgcn-amd-amdhsa--gfx1201
amdhsa.version:
  - 1
  - 2
...

	.end_amdgpu_metadata
	.section	.debug_line,"",@progbits
.Lline_table_start0:
